;; amdgpu-corpus repo=ROCm/rocFFT kind=compiled arch=gfx950 opt=O3
	.text
	.amdgcn_target "amdgcn-amd-amdhsa--gfx950"
	.amdhsa_code_object_version 6
	.protected	fft_rtc_fwd_len1960_factors_4_7_2_7_5_wgs_56_tpt_56_halfLds_dp_op_CI_CI_sbrr_dirReg ; -- Begin function fft_rtc_fwd_len1960_factors_4_7_2_7_5_wgs_56_tpt_56_halfLds_dp_op_CI_CI_sbrr_dirReg
	.globl	fft_rtc_fwd_len1960_factors_4_7_2_7_5_wgs_56_tpt_56_halfLds_dp_op_CI_CI_sbrr_dirReg
	.p2align	8
	.type	fft_rtc_fwd_len1960_factors_4_7_2_7_5_wgs_56_tpt_56_halfLds_dp_op_CI_CI_sbrr_dirReg,@function
fft_rtc_fwd_len1960_factors_4_7_2_7_5_wgs_56_tpt_56_halfLds_dp_op_CI_CI_sbrr_dirReg: ; @fft_rtc_fwd_len1960_factors_4_7_2_7_5_wgs_56_tpt_56_halfLds_dp_op_CI_CI_sbrr_dirReg
; %bb.0:
	s_load_dwordx4 s[12:15], s[0:1], 0x18
	s_load_dwordx4 s[8:11], s[0:1], 0x0
	;; [unrolled: 1-line block ×3, first 2 shown]
	v_mul_u32_u24_e32 v1, 0x493, v0
	v_add_u32_sdwa v6, s2, v1 dst_sel:DWORD dst_unused:UNUSED_PAD src0_sel:DWORD src1_sel:WORD_1
	s_waitcnt lgkmcnt(0)
	s_load_dwordx2 s[18:19], s[12:13], 0x0
	s_load_dwordx2 s[16:17], s[14:15], 0x0
	v_mov_b32_e32 v4, 0
	v_cmp_lt_u64_e64 s[2:3], s[10:11], 2
	v_mov_b32_e32 v7, v4
	s_and_b64 vcc, exec, s[2:3]
	v_mov_b64_e32 v[2:3], 0
	s_cbranch_vccnz .LBB0_8
; %bb.1:
	s_load_dwordx2 s[2:3], s[0:1], 0x10
	s_add_u32 s20, s14, 8
	s_addc_u32 s21, s15, 0
	s_add_u32 s22, s12, 8
	s_addc_u32 s23, s13, 0
	s_waitcnt lgkmcnt(0)
	s_add_u32 s24, s2, 8
	v_mov_b64_e32 v[2:3], 0
	s_addc_u32 s25, s3, 0
	s_mov_b64 s[26:27], 1
	v_mov_b64_e32 v[168:169], v[2:3]
.LBB0_2:                                ; =>This Inner Loop Header: Depth=1
	s_load_dwordx2 s[28:29], s[24:25], 0x0
                                        ; implicit-def: $vgpr170_vgpr171
	s_waitcnt lgkmcnt(0)
	v_or_b32_e32 v5, s29, v7
	v_cmp_ne_u64_e32 vcc, 0, v[4:5]
	s_and_saveexec_b64 s[2:3], vcc
	s_xor_b64 s[30:31], exec, s[2:3]
	s_cbranch_execz .LBB0_4
; %bb.3:                                ;   in Loop: Header=BB0_2 Depth=1
	v_cvt_f32_u32_e32 v1, s28
	v_cvt_f32_u32_e32 v5, s29
	s_sub_u32 s2, 0, s28
	s_subb_u32 s3, 0, s29
	v_fmac_f32_e32 v1, 0x4f800000, v5
	v_rcp_f32_e32 v1, v1
	s_nop 0
	v_mul_f32_e32 v1, 0x5f7ffffc, v1
	v_mul_f32_e32 v5, 0x2f800000, v1
	v_trunc_f32_e32 v5, v5
	v_fmac_f32_e32 v1, 0xcf800000, v5
	v_cvt_u32_f32_e32 v5, v5
	v_cvt_u32_f32_e32 v1, v1
	v_mul_lo_u32 v8, s2, v5
	v_mul_hi_u32 v10, s2, v1
	v_mul_lo_u32 v9, s3, v1
	v_add_u32_e32 v10, v10, v8
	v_mul_lo_u32 v12, s2, v1
	v_add_u32_e32 v13, v10, v9
	v_mul_hi_u32 v8, v1, v12
	v_mul_hi_u32 v11, v1, v13
	v_mul_lo_u32 v10, v1, v13
	v_mov_b32_e32 v9, v4
	v_lshl_add_u64 v[8:9], v[8:9], 0, v[10:11]
	v_mul_hi_u32 v11, v5, v12
	v_mul_lo_u32 v12, v5, v12
	v_add_co_u32_e32 v8, vcc, v8, v12
	v_mul_hi_u32 v10, v5, v13
	s_nop 0
	v_addc_co_u32_e32 v8, vcc, v9, v11, vcc
	v_mov_b32_e32 v9, v4
	s_nop 0
	v_addc_co_u32_e32 v11, vcc, 0, v10, vcc
	v_mul_lo_u32 v10, v5, v13
	v_lshl_add_u64 v[8:9], v[8:9], 0, v[10:11]
	v_add_co_u32_e32 v1, vcc, v1, v8
	v_mul_lo_u32 v10, s2, v1
	s_nop 0
	v_addc_co_u32_e32 v5, vcc, v5, v9, vcc
	v_mul_lo_u32 v8, s2, v5
	v_mul_hi_u32 v9, s2, v1
	v_add_u32_e32 v8, v9, v8
	v_mul_lo_u32 v9, s3, v1
	v_add_u32_e32 v12, v8, v9
	v_mul_hi_u32 v14, v5, v10
	v_mul_lo_u32 v15, v5, v10
	v_mul_hi_u32 v9, v1, v12
	v_mul_lo_u32 v8, v1, v12
	v_mul_hi_u32 v10, v1, v10
	v_mov_b32_e32 v11, v4
	v_lshl_add_u64 v[8:9], v[10:11], 0, v[8:9]
	v_add_co_u32_e32 v8, vcc, v8, v15
	v_mul_hi_u32 v13, v5, v12
	s_nop 0
	v_addc_co_u32_e32 v8, vcc, v9, v14, vcc
	v_mul_lo_u32 v10, v5, v12
	s_nop 0
	v_addc_co_u32_e32 v11, vcc, 0, v13, vcc
	v_mov_b32_e32 v9, v4
	v_lshl_add_u64 v[8:9], v[8:9], 0, v[10:11]
	v_add_co_u32_e32 v1, vcc, v1, v8
	v_mul_hi_u32 v10, v6, v1
	s_nop 0
	v_addc_co_u32_e32 v5, vcc, v5, v9, vcc
	v_mad_u64_u32 v[8:9], s[2:3], v6, v5, 0
	v_mov_b32_e32 v11, v4
	v_lshl_add_u64 v[8:9], v[10:11], 0, v[8:9]
	v_mad_u64_u32 v[12:13], s[2:3], v7, v1, 0
	v_add_co_u32_e32 v1, vcc, v8, v12
	v_mad_u64_u32 v[10:11], s[2:3], v7, v5, 0
	s_nop 0
	v_addc_co_u32_e32 v8, vcc, v9, v13, vcc
	v_mov_b32_e32 v9, v4
	s_nop 0
	v_addc_co_u32_e32 v11, vcc, 0, v11, vcc
	v_lshl_add_u64 v[8:9], v[8:9], 0, v[10:11]
	v_mul_lo_u32 v1, s29, v8
	v_mul_lo_u32 v5, s28, v9
	v_mad_u64_u32 v[10:11], s[2:3], s28, v8, 0
	v_add3_u32 v1, v11, v5, v1
	v_sub_u32_e32 v5, v7, v1
	v_mov_b32_e32 v11, s29
	v_sub_co_u32_e32 v14, vcc, v6, v10
	v_lshl_add_u64 v[12:13], v[8:9], 0, 1
	s_nop 0
	v_subb_co_u32_e64 v5, s[2:3], v5, v11, vcc
	v_subrev_co_u32_e64 v10, s[2:3], s28, v14
	v_subb_co_u32_e32 v1, vcc, v7, v1, vcc
	s_nop 0
	v_subbrev_co_u32_e64 v5, s[2:3], 0, v5, s[2:3]
	v_cmp_le_u32_e64 s[2:3], s29, v5
	v_cmp_le_u32_e32 vcc, s29, v1
	s_nop 0
	v_cndmask_b32_e64 v11, 0, -1, s[2:3]
	v_cmp_le_u32_e64 s[2:3], s28, v10
	s_nop 1
	v_cndmask_b32_e64 v10, 0, -1, s[2:3]
	v_cmp_eq_u32_e64 s[2:3], s29, v5
	s_nop 1
	v_cndmask_b32_e64 v5, v11, v10, s[2:3]
	v_lshl_add_u64 v[10:11], v[8:9], 0, 2
	v_cmp_ne_u32_e64 s[2:3], 0, v5
	s_nop 1
	v_cndmask_b32_e64 v5, v13, v11, s[2:3]
	v_cndmask_b32_e64 v11, 0, -1, vcc
	v_cmp_le_u32_e32 vcc, s28, v14
	s_nop 1
	v_cndmask_b32_e64 v13, 0, -1, vcc
	v_cmp_eq_u32_e32 vcc, s29, v1
	s_nop 1
	v_cndmask_b32_e32 v1, v11, v13, vcc
	v_cmp_ne_u32_e32 vcc, 0, v1
	v_cndmask_b32_e64 v1, v12, v10, s[2:3]
	s_nop 0
	v_cndmask_b32_e32 v171, v9, v5, vcc
	v_cndmask_b32_e32 v170, v8, v1, vcc
.LBB0_4:                                ;   in Loop: Header=BB0_2 Depth=1
	s_andn2_saveexec_b64 s[2:3], s[30:31]
	s_cbranch_execz .LBB0_6
; %bb.5:                                ;   in Loop: Header=BB0_2 Depth=1
	v_cvt_f32_u32_e32 v1, s28
	s_sub_i32 s30, 0, s28
	v_mov_b32_e32 v171, v4
	v_rcp_iflag_f32_e32 v1, v1
	s_nop 0
	v_mul_f32_e32 v1, 0x4f7ffffe, v1
	v_cvt_u32_f32_e32 v1, v1
	v_mul_lo_u32 v5, s30, v1
	v_mul_hi_u32 v5, v1, v5
	v_add_u32_e32 v1, v1, v5
	v_mul_hi_u32 v1, v6, v1
	v_mul_lo_u32 v5, v1, s28
	v_sub_u32_e32 v5, v6, v5
	v_add_u32_e32 v8, 1, v1
	v_subrev_u32_e32 v9, s28, v5
	v_cmp_le_u32_e32 vcc, s28, v5
	s_nop 1
	v_cndmask_b32_e32 v5, v5, v9, vcc
	v_cndmask_b32_e32 v1, v1, v8, vcc
	v_add_u32_e32 v8, 1, v1
	v_cmp_le_u32_e32 vcc, s28, v5
	s_nop 1
	v_cndmask_b32_e32 v170, v1, v8, vcc
.LBB0_6:                                ;   in Loop: Header=BB0_2 Depth=1
	s_or_b64 exec, exec, s[2:3]
	v_mad_u64_u32 v[8:9], s[2:3], v170, s28, 0
	s_load_dwordx2 s[2:3], s[22:23], 0x0
	v_mul_lo_u32 v1, v171, s28
	v_mul_lo_u32 v5, v170, s29
	s_load_dwordx2 s[28:29], s[20:21], 0x0
	s_add_u32 s26, s26, 1
	v_add3_u32 v1, v9, v5, v1
	v_sub_co_u32_e32 v5, vcc, v6, v8
	s_addc_u32 s27, s27, 0
	s_nop 0
	v_subb_co_u32_e32 v1, vcc, v7, v1, vcc
	s_add_u32 s20, s20, 8
	s_waitcnt lgkmcnt(0)
	v_mul_lo_u32 v6, s2, v1
	v_mul_lo_u32 v7, s3, v5
	v_mad_u64_u32 v[2:3], s[2:3], s2, v5, v[2:3]
	s_addc_u32 s21, s21, 0
	v_add3_u32 v3, v7, v3, v6
	v_mul_lo_u32 v1, s28, v1
	v_mul_lo_u32 v6, s29, v5
	v_mad_u64_u32 v[168:169], s[2:3], s28, v5, v[168:169]
	s_add_u32 s22, s22, 8
	v_add3_u32 v169, v6, v169, v1
	s_addc_u32 s23, s23, 0
	v_mov_b64_e32 v[6:7], s[10:11]
	s_add_u32 s24, s24, 8
	v_cmp_ge_u64_e32 vcc, s[26:27], v[6:7]
	s_addc_u32 s25, s25, 0
	s_cbranch_vccnz .LBB0_9
; %bb.7:                                ;   in Loop: Header=BB0_2 Depth=1
	v_mov_b64_e32 v[6:7], v[170:171]
	s_branch .LBB0_2
.LBB0_8:
	v_mov_b64_e32 v[168:169], v[2:3]
	v_mov_b64_e32 v[170:171], v[6:7]
.LBB0_9:
	s_load_dwordx2 s[0:1], s[0:1], 0x28
	s_lshl_b64 s[20:21], s[10:11], 3
	s_add_u32 s10, s14, s20
	s_addc_u32 s11, s15, s21
                                        ; implicit-def: $vgpr150_vgpr151
                                        ; implicit-def: $vgpr166_vgpr167
                                        ; implicit-def: $vgpr226
                                        ; implicit-def: $vgpr172
                                        ; implicit-def: $vgpr187
                                        ; implicit-def: $vgpr197
                                        ; implicit-def: $vgpr152
	s_waitcnt lgkmcnt(0)
	v_cmp_gt_u64_e32 vcc, s[0:1], v[170:171]
	v_cmp_le_u64_e64 s[0:1], s[0:1], v[170:171]
	s_and_saveexec_b64 s[2:3], s[0:1]
	s_xor_b64 s[0:1], exec, s[2:3]
	s_cbranch_execz .LBB0_11
; %bb.10:
	s_mov_b32 s2, 0x4924925
	v_mul_hi_u32 v1, v0, s2
	v_mul_u32_u24_e32 v1, 56, v1
	v_sub_u32_e32 v226, v0, v1
	v_add_u32_e32 v172, 56, v226
	v_add_u32_e32 v187, 0x70, v226
	;; [unrolled: 1-line block ×7, first 2 shown]
	v_or_b32_e32 v152, 0x1c0, v226
                                        ; implicit-def: $vgpr0
                                        ; implicit-def: $vgpr2_vgpr3
.LBB0_11:
	s_or_saveexec_b64 s[2:3], s[0:1]
	s_load_dwordx2 s[10:11], s[10:11], 0x0
                                        ; implicit-def: $vgpr12_vgpr13
                                        ; implicit-def: $vgpr16_vgpr17
                                        ; implicit-def: $vgpr4_vgpr5
                                        ; implicit-def: $vgpr32_vgpr33
                                        ; implicit-def: $vgpr48_vgpr49
                                        ; implicit-def: $vgpr36_vgpr37
                                        ; implicit-def: $vgpr52_vgpr53
                                        ; implicit-def: $vgpr40_vgpr41
                                        ; implicit-def: $vgpr92_vgpr93
                                        ; implicit-def: $vgpr44_vgpr45
                                        ; implicit-def: $vgpr96_vgpr97
                                        ; implicit-def: $vgpr60_vgpr61
                                        ; implicit-def: $vgpr100_vgpr101
                                        ; implicit-def: $vgpr56_vgpr57
                                        ; implicit-def: $vgpr104_vgpr105
                                        ; implicit-def: $vgpr64_vgpr65
                                        ; implicit-def: $vgpr28_vgpr29
                                        ; implicit-def: $vgpr108_vgpr109
                                        ; implicit-def: $vgpr132_vgpr133
                                        ; implicit-def: $vgpr24_vgpr25
                                        ; implicit-def: $vgpr116_vgpr117
                                        ; implicit-def: $vgpr72_vgpr73
                                        ; implicit-def: $vgpr120_vgpr121
                                        ; implicit-def: $vgpr84_vgpr85
                                        ; implicit-def: $vgpr124_vgpr125
                                        ; implicit-def: $vgpr80_vgpr81
                                        ; implicit-def: $vgpr128_vgpr129
                                        ; implicit-def: $vgpr88_vgpr89
                                        ; implicit-def: $vgpr136_vgpr137
                                        ; implicit-def: $vgpr68_vgpr69
                                        ; implicit-def: $vgpr140_vgpr141
                                        ; implicit-def: $vgpr76_vgpr77
                                        ; implicit-def: $vgpr144_vgpr145
                                        ; implicit-def: $vgpr8_vgpr9
                                        ; implicit-def: $vgpr112_vgpr113
                                        ; implicit-def: $vgpr20_vgpr21
	s_xor_b64 exec, exec, s[2:3]
	s_cbranch_execz .LBB0_15
; %bb.12:
	s_add_u32 s0, s12, s20
	s_addc_u32 s1, s13, s21
	s_load_dwordx2 s[0:1], s[0:1], 0x0
	s_mov_b32 s12, 0x4924925
	s_waitcnt lgkmcnt(0)
	v_mul_lo_u32 v1, s1, v170
	v_mul_lo_u32 v6, s0, v171
	v_mad_u64_u32 v[4:5], s[0:1], s0, v170, 0
	v_add3_u32 v5, v5, v6, v1
	v_mul_hi_u32 v1, v0, s12
	v_mul_u32_u24_e32 v1, 56, v1
	v_sub_u32_e32 v226, v0, v1
	v_mad_u64_u32 v[6:7], s[0:1], s18, v226, 0
	v_mov_b32_e32 v0, v7
	v_mad_u64_u32 v[0:1], s[0:1], s19, v226, v[0:1]
	v_mov_b32_e32 v7, v0
	v_lshl_add_u64 v[0:1], v[4:5], 4, s[4:5]
	v_lshl_add_u64 v[0:1], v[2:3], 4, v[0:1]
	;; [unrolled: 1-line block ×3, first 2 shown]
	v_add_u32_e32 v7, 0x1ea, v226
	v_mad_u64_u32 v[4:5], s[0:1], s18, v7, 0
	v_mov_b32_e32 v6, v5
	v_mad_u64_u32 v[6:7], s[0:1], s19, v7, v[6:7]
	v_mov_b32_e32 v5, v6
	v_lshl_add_u64 v[4:5], v[4:5], 4, v[0:1]
	global_load_dwordx4 v[18:21], v[2:3], off
	global_load_dwordx4 v[10:13], v[4:5], off
	v_add_u32_e32 v5, 0x3d4, v226
	v_mad_u64_u32 v[2:3], s[0:1], s18, v5, 0
	v_mov_b32_e32 v4, v3
	v_mad_u64_u32 v[4:5], s[0:1], s19, v5, v[4:5]
	v_add_u32_e32 v7, 0x5be, v226
	v_mov_b32_e32 v3, v4
	v_mad_u64_u32 v[4:5], s[0:1], s18, v7, 0
	v_mov_b32_e32 v6, v5
	v_mad_u64_u32 v[6:7], s[0:1], s19, v7, v[6:7]
	v_lshl_add_u64 v[2:3], v[2:3], 4, v[0:1]
	v_mov_b32_e32 v5, v6
	v_add_u32_e32 v172, 56, v226
	v_lshl_add_u64 v[4:5], v[4:5], 4, v[0:1]
	global_load_dwordx4 v[14:17], v[2:3], off
	global_load_dwordx4 v[110:113], v[4:5], off
	v_mad_u64_u32 v[2:3], s[0:1], s18, v172, 0
	v_mov_b32_e32 v4, v3
	v_mad_u64_u32 v[4:5], s[0:1], s19, v172, v[4:5]
	v_mov_b32_e32 v3, v4
	v_add_u32_e32 v5, 0x222, v226
	v_lshl_add_u64 v[22:23], v[2:3], 4, v[0:1]
	v_mad_u64_u32 v[2:3], s[0:1], s18, v5, 0
	v_mov_b32_e32 v4, v3
	v_mad_u64_u32 v[4:5], s[0:1], s19, v5, v[4:5]
	v_mov_b32_e32 v3, v4
	v_lshl_add_u64 v[24:25], v[2:3], 4, v[0:1]
	global_load_dwordx4 v[6:9], v[22:23], off
	global_load_dwordx4 v[2:5], v[24:25], off
	v_add_u32_e32 v25, 0x40c, v226
	v_mad_u64_u32 v[22:23], s[0:1], s18, v25, 0
	v_mov_b32_e32 v24, v23
	v_mad_u64_u32 v[24:25], s[0:1], s19, v25, v[24:25]
	v_add_u32_e32 v27, 0x5f6, v226
	v_mov_b32_e32 v23, v24
	v_mad_u64_u32 v[24:25], s[0:1], s18, v27, 0
	v_mov_b32_e32 v26, v25
	v_mad_u64_u32 v[26:27], s[0:1], s19, v27, v[26:27]
	v_add_u32_e32 v187, 0x70, v226
	v_mov_b32_e32 v25, v26
	;; [unrolled: 5-line block ×4, first 2 shown]
	v_mad_u64_u32 v[30:31], s[0:1], s18, v33, 0
	v_mov_b32_e32 v32, v31
	v_mad_u64_u32 v[32:33], s[0:1], s19, v33, v[32:33]
	v_mov_b32_e32 v31, v32
	v_add_u32_e32 v33, 0x62e, v226
	v_lshl_add_u64 v[42:43], v[30:31], 4, v[0:1]
	v_mad_u64_u32 v[30:31], s[0:1], s18, v33, 0
	v_mov_b32_e32 v32, v31
	v_mad_u64_u32 v[32:33], s[0:1], s19, v33, v[32:33]
	v_mov_b32_e32 v31, v32
	v_add_u32_e32 v197, 0xa8, v226
	v_lshl_add_u64 v[44:45], v[30:31], 4, v[0:1]
	;; [unrolled: 6-line block ×9, first 2 shown]
	v_mad_u64_u32 v[30:31], s[0:1], s18, v167, 0
	v_mov_b32_e32 v32, v31
	v_mad_u64_u32 v[32:33], s[0:1], s19, v167, v[32:33]
	v_add_u32_e32 v166, 0x118, v226
	v_mov_b32_e32 v31, v32
	v_lshl_add_u64 v[72:73], v[30:31], 4, v[0:1]
	v_mad_u64_u32 v[30:31], s[0:1], s18, v166, 0
	v_mov_b32_e32 v32, v31
	v_mad_u64_u32 v[32:33], s[0:1], s19, v166, v[32:33]
	v_mov_b32_e32 v31, v32
	v_add_u32_e32 v33, 0x302, v226
	v_lshl_add_u64 v[82:83], v[30:31], 4, v[0:1]
	v_mad_u64_u32 v[30:31], s[0:1], s18, v33, 0
	v_mov_b32_e32 v32, v31
	v_mad_u64_u32 v[32:33], s[0:1], s19, v33, v[32:33]
	v_mov_b32_e32 v31, v32
	v_add_u32_e32 v33, 0x4ec, v226
	;; [unrolled: 6-line block ×7, first 2 shown]
	v_lshl_add_u64 v[106:107], v[30:31], 4, v[0:1]
	v_mad_u64_u32 v[30:31], s[0:1], s18, v150, 0
	v_mov_b32_e32 v32, v31
	v_mad_u64_u32 v[32:33], s[0:1], s19, v150, v[32:33]
	v_add_u32_e32 v151, 0x188, v226
	v_mov_b32_e32 v31, v32
	v_lshl_add_u64 v[108:109], v[30:31], 4, v[0:1]
	v_mad_u64_u32 v[30:31], s[0:1], s18, v151, 0
	v_mov_b32_e32 v32, v31
	v_mad_u64_u32 v[32:33], s[0:1], s19, v151, v[32:33]
	v_mov_b32_e32 v31, v32
	v_add_u32_e32 v33, 0x372, v226
	v_lshl_add_u64 v[114:115], v[30:31], 4, v[0:1]
	v_mad_u64_u32 v[30:31], s[0:1], s18, v33, 0
	v_mov_b32_e32 v32, v31
	v_mad_u64_u32 v[32:33], s[0:1], s19, v33, v[32:33]
	v_mov_b32_e32 v31, v32
	v_add_u32_e32 v33, 0x55c, v226
	;; [unrolled: 6-line block ×3, first 2 shown]
	v_lshl_add_u64 v[130:131], v[30:31], 4, v[0:1]
	v_mad_u64_u32 v[30:31], s[0:1], s18, v33, 0
	v_mov_b32_e32 v32, v31
	v_mad_u64_u32 v[32:33], s[0:1], s19, v33, v[32:33]
	v_lshl_add_u64 v[22:23], v[22:23], 4, v[0:1]
	v_mov_b32_e32 v31, v32
	v_lshl_add_u64 v[24:25], v[24:25], 4, v[0:1]
	v_lshl_add_u64 v[26:27], v[26:27], 4, v[0:1]
	;; [unrolled: 1-line block ×4, first 2 shown]
	global_load_dwordx4 v[30:33], v[22:23], off
	global_load_dwordx4 v[142:145], v[24:25], off
	;; [unrolled: 1-line block ×9, first 2 shown]
                                        ; kill: killed $vgpr28_vgpr29
                                        ; kill: killed $vgpr24_vgpr25
                                        ; kill: killed $vgpr58_vgpr59
                                        ; kill: killed $vgpr26_vgpr27
                                        ; kill: killed $vgpr22_vgpr23
                                        ; kill: killed $vgpr56_vgpr57
                                        ; kill: killed $vgpr44_vgpr45
                                        ; kill: killed $vgpr54_vgpr55
                                        ; kill: killed $vgpr42_vgpr43
	global_load_dwordx4 v[134:137], v[60:61], off
	global_load_dwordx4 v[90:93], v[62:63], off
	s_nop 0
	global_load_dwordx4 v[42:45], v[64:65], off
	global_load_dwordx4 v[126:129], v[70:71], off
	;; [unrolled: 1-line block ×3, first 2 shown]
                                        ; kill: killed $vgpr60_vgpr61
                                        ; kill: killed $vgpr70_vgpr71
                                        ; kill: killed $vgpr72_vgpr73
                                        ; kill: killed $vgpr64_vgpr65
                                        ; kill: killed $vgpr62_vgpr63
	global_load_dwordx4 v[78:81], v[82:83], off
	global_load_dwordx4 v[94:97], v[84:85], off
                                        ; kill: killed $vgpr82_vgpr83
                                        ; kill: killed $vgpr84_vgpr85
	global_load_dwordx4 v[58:61], v[98:99], off
	global_load_dwordx4 v[122:125], v[100:101], off
	s_nop 0
	global_load_dwordx4 v[98:101], v[102:103], off
	global_load_dwordx4 v[54:57], v[104:105], off
	global_load_dwordx4 v[118:121], v[106:107], off
	global_load_dwordx4 v[82:85], v[108:109], off
	global_load_dwordx4 v[70:73], v[114:115], off
	s_nop 0
	global_load_dwordx4 v[102:105], v[116:117], off
	global_load_dwordx4 v[62:65], v[130:131], off
	s_nop 0
	global_load_dwordx4 v[114:117], v[132:133], off
	s_movk_i32 s0, 0x1ea
	v_or_b32_e32 v152, 0x1c0, v226
	v_cmp_gt_u32_e64 s[0:1], s0, v152
                                        ; implicit-def: $vgpr22_vgpr23
                                        ; implicit-def: $vgpr130_vgpr131
                                        ; implicit-def: $vgpr106_vgpr107
                                        ; implicit-def: $vgpr26_vgpr27
	s_and_saveexec_b64 s[4:5], s[0:1]
	s_cbranch_execz .LBB0_14
; %bb.13:
	v_mad_u64_u32 v[22:23], s[0:1], s18, v152, 0
	v_add_u32_e32 v109, 0x594, v226
	v_mov_b32_e32 v24, v23
	v_mad_u64_u32 v[106:107], s[0:1], s18, v109, 0
	v_mad_u64_u32 v[24:25], s[0:1], s19, v152, v[24:25]
	v_add_u32_e32 v27, 0x3aa, v226
	v_mov_b32_e32 v108, v107
	v_mov_b32_e32 v23, v24
	v_mad_u64_u32 v[24:25], s[0:1], s18, v27, 0
	v_mad_u64_u32 v[108:109], s[0:1], s19, v109, v[108:109]
	v_add_u32_e32 v131, 0x77e, v226
	v_mov_b32_e32 v26, v25
	v_mov_b32_e32 v107, v108
	v_mad_u64_u32 v[108:109], s[0:1], s18, v131, 0
	v_mad_u64_u32 v[26:27], s[0:1], s19, v27, v[26:27]
	v_mov_b32_e32 v130, v109
	v_mov_b32_e32 v25, v26
	v_mad_u64_u32 v[130:131], s[0:1], s19, v131, v[130:131]
	v_lshl_add_u64 v[22:23], v[22:23], 4, v[0:1]
	v_lshl_add_u64 v[26:27], v[24:25], 4, v[0:1]
	;; [unrolled: 1-line block ×3, first 2 shown]
	v_mov_b32_e32 v109, v130
	global_load_dwordx4 v[22:25], v[22:23], off
	s_nop 0
	global_load_dwordx4 v[26:29], v[26:27], off
	v_lshl_add_u64 v[0:1], v[108:109], 4, v[0:1]
	global_load_dwordx4 v[106:109], v[106:107], off
	s_nop 0
	global_load_dwordx4 v[130:133], v[0:1], off
.LBB0_14:
	s_or_b64 exec, exec, s[4:5]
.LBB0_15:
	s_or_b64 exec, exec, s[2:3]
	s_waitcnt vmcnt(29)
	v_add_f64 v[0:1], v[18:19], -v[14:15]
	s_waitcnt vmcnt(28)
	v_add_f64 v[14:15], v[10:11], -v[110:111]
	v_fma_f64 v[146:147], v[18:19], 2.0, -v[0:1]
	v_fma_f64 v[10:11], v[10:11], 2.0, -v[14:15]
	v_add_f64 v[18:19], v[12:13], -v[112:113]
	v_add_f64 v[110:111], v[146:147], -v[10:11]
	s_waitcnt vmcnt(25)
	v_add_f64 v[10:11], v[6:7], -v[30:31]
	v_add_f64 v[112:113], v[0:1], -v[18:19]
	v_fma_f64 v[30:31], v[6:7], 2.0, -v[10:11]
	s_waitcnt vmcnt(24)
	v_add_f64 v[6:7], v[2:3], -v[142:143]
	v_add_f64 v[154:155], v[4:5], -v[144:145]
	v_fma_f64 v[148:149], v[0:1], 2.0, -v[112:113]
	v_lshl_add_u32 v165, v226, 5, 0
	v_fma_f64 v[0:1], v[2:3], 2.0, -v[6:7]
	v_add_f64 v[2:3], v[10:11], -v[154:155]
	ds_write_b128 v165, v[110:113] offset:16
	v_add_f64 v[0:1], v[30:31], -v[0:1]
	v_fma_f64 v[112:113], v[10:11], 2.0, -v[2:3]
	v_lshl_add_u32 v162, v172, 5, 0
	s_waitcnt vmcnt(21)
	v_add_f64 v[10:11], v[74:75], -v[34:35]
	s_waitcnt vmcnt(20)
	v_add_f64 v[156:157], v[46:47], -v[138:139]
	v_add_f64 v[158:159], v[48:49], -v[140:141]
	v_fma_f64 v[146:147], v[146:147], 2.0, -v[110:111]
	v_fma_f64 v[110:111], v[30:31], 2.0, -v[0:1]
	;; [unrolled: 1-line block ×3, first 2 shown]
	ds_write_b128 v162, v[0:3] offset:16
	v_fma_f64 v[0:1], v[46:47], 2.0, -v[156:157]
	v_add_f64 v[2:3], v[10:11], -v[158:159]
	ds_write_b128 v165, v[146:149]
	ds_write_b128 v162, v[110:113]
	v_add_f64 v[0:1], v[30:31], -v[0:1]
	v_fma_f64 v[112:113], v[10:11], 2.0, -v[2:3]
	v_lshl_add_u32 v163, v187, 5, 0
	s_waitcnt vmcnt(17)
	v_add_f64 v[10:11], v[66:67], -v[38:39]
	s_waitcnt vmcnt(16)
	v_add_f64 v[74:75], v[50:51], -v[134:135]
	v_add_f64 v[160:161], v[52:53], -v[136:137]
	v_fma_f64 v[110:111], v[30:31], 2.0, -v[0:1]
	v_fma_f64 v[30:31], v[66:67], 2.0, -v[10:11]
	ds_write_b128 v163, v[0:3] offset:16
	v_fma_f64 v[0:1], v[50:51], 2.0, -v[74:75]
	v_add_f64 v[2:3], v[10:11], -v[160:161]
	ds_write_b128 v163, v[110:113]
	v_add_f64 v[0:1], v[30:31], -v[0:1]
	v_fma_f64 v[112:113], v[10:11], 2.0, -v[2:3]
	v_lshl_add_u32 v164, v197, 5, 0
	s_waitcnt vmcnt(12)
	v_add_f64 v[10:11], v[86:87], -v[42:43]
	v_add_f64 v[50:51], v[90:91], -v[126:127]
	;; [unrolled: 1-line block ×3, first 2 shown]
	v_fma_f64 v[110:111], v[30:31], 2.0, -v[0:1]
	ds_write_b128 v164, v[0:3] offset:16
	v_fma_f64 v[30:31], v[86:87], 2.0, -v[10:11]
	v_fma_f64 v[0:1], v[90:91], 2.0, -v[50:51]
	v_add_f64 v[2:3], v[10:11], -v[66:67]
	ds_write_b128 v164, v[110:113]
	v_add_f64 v[0:1], v[30:31], -v[0:1]
	v_fma_f64 v[112:113], v[10:11], 2.0, -v[2:3]
	v_lshl_add_u32 v91, v167, 5, 0
	s_waitcnt vmcnt(9)
	v_add_f64 v[10:11], v[78:79], -v[58:59]
	s_waitcnt vmcnt(8)
	v_add_f64 v[58:59], v[94:95], -v[122:123]
	v_fma_f64 v[110:111], v[30:31], 2.0, -v[0:1]
	ds_write_b128 v91, v[0:3] offset:16
	v_fma_f64 v[30:31], v[78:79], 2.0, -v[10:11]
	v_add_f64 v[78:79], v[96:97], -v[124:125]
	v_fma_f64 v[0:1], v[94:95], 2.0, -v[58:59]
	v_add_f64 v[0:1], v[30:31], -v[0:1]
	v_add_f64 v[2:3], v[10:11], -v[78:79]
	ds_write_b128 v91, v[110:113]
	v_fma_f64 v[110:111], v[30:31], 2.0, -v[0:1]
	v_fma_f64 v[112:113], v[10:11], 2.0, -v[2:3]
	v_lshl_add_u32 v90, v166, 5, 0
	s_waitcnt vmcnt(4)
	v_add_f64 v[10:11], v[82:83], -v[54:55]
	v_add_f64 v[54:55], v[98:99], -v[118:119]
	ds_write_b128 v90, v[110:113]
	ds_write_b128 v90, v[0:3] offset:16
	v_add_f64 v[86:87], v[100:101], -v[120:121]
	v_fma_f64 v[30:31], v[82:83], 2.0, -v[10:11]
	v_fma_f64 v[0:1], v[98:99], 2.0, -v[54:55]
	v_add_f64 v[0:1], v[30:31], -v[0:1]
	v_add_f64 v[2:3], v[10:11], -v[86:87]
	v_fma_f64 v[110:111], v[30:31], 2.0, -v[0:1]
	v_fma_f64 v[112:113], v[10:11], 2.0, -v[2:3]
	v_lshl_add_u32 v95, v150, 5, 0
	s_waitcnt vmcnt(1)
	v_add_f64 v[10:11], v[70:71], -v[62:63]
	s_waitcnt vmcnt(0)
	v_add_f64 v[62:63], v[102:103], -v[114:115]
	ds_write_b128 v95, v[110:113]
	ds_write_b128 v95, v[0:3] offset:16
	v_add_f64 v[82:83], v[104:105], -v[116:117]
	v_fma_f64 v[30:31], v[70:71], 2.0, -v[10:11]
	v_fma_f64 v[0:1], v[102:103], 2.0, -v[62:63]
	v_add_f64 v[0:1], v[30:31], -v[0:1]
	v_add_f64 v[2:3], v[10:11], -v[82:83]
	v_fma_f64 v[110:111], v[30:31], 2.0, -v[0:1]
	v_fma_f64 v[112:113], v[10:11], 2.0, -v[2:3]
	v_lshl_add_u32 v98, v151, 5, 0
	ds_write_b128 v98, v[110:113]
	ds_write_b128 v98, v[0:3] offset:16
	v_add_f64 v[46:47], v[28:29], -v[132:133]
	v_add_f64 v[0:1], v[22:23], -v[106:107]
	;; [unrolled: 1-line block ×3, first 2 shown]
	v_accvgpr_write_b32 a15, v3
	v_add_f64 v[70:71], v[26:27], -v[130:131]
	v_cmp_gt_u32_e64 s[0:1], 42, v226
	v_lshl_add_u32 v94, v152, 5, 0
	v_accvgpr_write_b32 a14, v2
	s_and_saveexec_b64 s[2:3], s[0:1]
	s_cbranch_execz .LBB0_17
; %bb.16:
	v_accvgpr_read_b32 v117, a15
	v_accvgpr_read_b32 v116, a14
	v_fma_f64 v[112:113], v[0:1], 2.0, -v[116:117]
	v_fma_f64 v[0:1], v[22:23], 2.0, -v[0:1]
	;; [unrolled: 1-line block ×3, first 2 shown]
	v_add_f64 v[114:115], v[0:1], -v[2:3]
	v_fma_f64 v[110:111], v[0:1], 2.0, -v[114:115]
	ds_write_b128 v94, v[110:113]
	ds_write_b128 v94, v[114:117] offset:16
.LBB0_17:
	s_or_b64 exec, exec, s[2:3]
	v_add_f64 v[0:1], v[20:21], -v[16:17]
	v_add_f64 v[182:183], v[14:15], v[0:1]
	s_movk_i32 s2, 0xffe8
	v_accvgpr_write_b32 a10, v150
	v_fma_f64 v[2:3], v[20:21], 2.0, -v[0:1]
	v_fma_f64 v[10:11], v[12:13], 2.0, -v[18:19]
	;; [unrolled: 1-line block ×3, first 2 shown]
	v_lshl_add_u32 v227, v226, 3, 0
	v_mad_i32_i24 v0, v166, s2, v90
	v_lshl_add_u32 v202, v197, 3, 0
	v_accvgpr_write_b32 a0, v152
	v_accvgpr_write_b32 a11, v151
	v_add_f64 v[180:181], v[2:3], -v[10:11]
	s_waitcnt lgkmcnt(0)
	; wave barrier
	s_waitcnt lgkmcnt(0)
	ds_read_b64 v[34:35], v227
	v_add_u32_e32 v99, 0x1000, v227
	v_add_u32_e32 v196, 0x1800, v227
	;; [unrolled: 1-line block ×5, first 2 shown]
	v_lshl_add_u32 v173, v172, 3, 0
	v_add_u32_e32 v102, 0x800, v227
	v_lshl_add_u32 v191, v187, 3, 0
	v_add_u32_e32 v103, 0x2400, v227
	v_add_u32_e32 v106, 0x3800, v227
	v_add_u32_e32 v179, 0x1c00, v227
	v_lshl_add_u32 v203, v167, 3, 0
	ds_read_b64 v[22:23], v202
	ds_read_b64 v[42:43], v0
	;; [unrolled: 1-line block ×5, first 2 shown]
	ds_read_b64 v[38:39], v227 offset:15232
	ds_read2_b64 v[150:153], v99 offset0:48 offset1:104
	ds_read2_b64 v[18:21], v196 offset0:16 offset1:72
	;; [unrolled: 1-line block ×10, first 2 shown]
	ds_read2_b64 v[118:121], v106 offset1:56
	ds_read2_b64 v[114:117], v102 offset0:192 offset1:248
	ds_read2_b64 v[110:113], v179 offset0:112 offset1:168
	;; [unrolled: 1-line block ×3, first 2 shown]
	v_add_f64 v[32:33], v[8:9], -v[32:33]
	v_fma_f64 v[192:193], v[2:3], 2.0, -v[180:181]
	v_fma_f64 v[2:3], v[4:5], 2.0, -v[154:155]
	;; [unrolled: 1-line block ×4, first 2 shown]
	v_add_f64 v[158:159], v[8:9], -v[2:3]
	v_add_f64 v[2:3], v[76:77], -v[36:37]
	v_fma_f64 v[48:49], v[52:53], 2.0, -v[160:161]
	v_fma_f64 v[52:53], v[92:93], 2.0, -v[66:67]
	v_fma_f64 v[92:93], v[96:97], 2.0, -v[78:79]
	v_add_f64 v[78:79], v[156:157], v[2:3]
	v_add_f64 v[160:161], v[6:7], v[32:33]
	v_fma_f64 v[6:7], v[76:77], 2.0, -v[2:3]
	v_fma_f64 v[156:157], v[2:3], 2.0, -v[78:79]
	v_add_f64 v[2:3], v[68:69], -v[40:41]
	v_add_f64 v[76:77], v[6:7], -v[4:5]
	v_fma_f64 v[4:5], v[68:69], 2.0, -v[2:3]
	v_add_f64 v[68:69], v[74:75], v[2:3]
	s_waitcnt lgkmcnt(0)
	; wave barrier
	s_waitcnt lgkmcnt(0)
	ds_write_b128 v165, v[192:195]
	ds_write_b128 v165, v[180:183] offset:16
	v_fma_f64 v[194:195], v[2:3], 2.0, -v[68:69]
	v_add_f64 v[2:3], v[88:89], -v[44:45]
	v_add_f64 v[66:67], v[4:5], -v[48:49]
	v_add_f64 v[50:51], v[50:51], v[2:3]
	v_fma_f64 v[192:193], v[4:5], 2.0, -v[66:67]
	v_fma_f64 v[4:5], v[88:89], 2.0, -v[2:3]
	v_fma_f64 v[88:89], v[2:3], 2.0, -v[50:51]
	v_add_f64 v[2:3], v[80:81], -v[60:61]
	v_fma_f64 v[96:97], v[100:101], 2.0, -v[86:87]
	v_fma_f64 v[100:101], v[104:105], 2.0, -v[82:83]
	v_add_f64 v[48:49], v[4:5], -v[52:53]
	v_add_f64 v[82:83], v[58:59], v[2:3]
	v_fma_f64 v[86:87], v[4:5], 2.0, -v[48:49]
	v_fma_f64 v[4:5], v[80:81], 2.0, -v[2:3]
	;; [unrolled: 1-line block ×3, first 2 shown]
	v_add_f64 v[2:3], v[84:85], -v[56:57]
	v_add_f64 v[80:81], v[4:5], -v[92:93]
	v_add_f64 v[54:55], v[54:55], v[2:3]
	v_fma_f64 v[58:59], v[4:5], 2.0, -v[80:81]
	v_fma_f64 v[4:5], v[84:85], 2.0, -v[2:3]
	;; [unrolled: 1-line block ×3, first 2 shown]
	v_add_f64 v[2:3], v[72:73], -v[64:65]
	v_fma_f64 v[180:181], v[8:9], 2.0, -v[158:159]
	v_add_f64 v[52:53], v[4:5], -v[96:97]
	v_add_f64 v[74:75], v[62:63], v[2:3]
	v_add_f64 v[8:9], v[24:25], -v[108:109]
	v_fma_f64 v[198:199], v[4:5], 2.0, -v[52:53]
	v_fma_f64 v[4:5], v[72:73], 2.0, -v[2:3]
	;; [unrolled: 1-line block ×3, first 2 shown]
	v_add_f64 v[2:3], v[70:71], v[8:9]
	v_accvgpr_write_b32 a17, v3
	v_accvgpr_write_b32 a6, v166
	v_fma_f64 v[182:183], v[32:33], 2.0, -v[160:161]
	v_add_f64 v[72:73], v[4:5], -v[100:101]
	v_accvgpr_write_b32 a16, v2
	v_accvgpr_write_b32 a7, v167
	v_mul_i32_i24_e32 v32, 0xffffffe8, v166
	v_fma_f64 v[154:155], v[6:7], 2.0, -v[76:77]
	v_fma_f64 v[62:63], v[4:5], 2.0, -v[72:73]
	ds_write_b128 v162, v[180:183]
	ds_write_b128 v162, v[158:161] offset:16
	ds_write_b128 v163, v[154:157]
	ds_write_b128 v163, v[76:79] offset:16
	;; [unrolled: 2-line block ×7, first 2 shown]
	s_and_saveexec_b64 s[2:3], s[0:1]
	s_cbranch_execz .LBB0_19
; %bb.18:
	v_fma_f64 v[2:3], v[24:25], 2.0, -v[8:9]
	v_fma_f64 v[4:5], v[28:29], 2.0, -v[46:47]
	v_accvgpr_read_b32 v6, a16
	v_accvgpr_read_b32 v7, a17
	v_add_f64 v[4:5], v[2:3], -v[4:5]
	v_fma_f64 v[44:45], v[2:3], 2.0, -v[4:5]
	v_fma_f64 v[46:47], v[8:9], 2.0, -v[6:7]
	ds_write_b128 v94, v[44:47]
	ds_write_b128 v94, v[4:7] offset:16
.LBB0_19:
	s_or_b64 exec, exec, s[2:3]
	v_and_b32_e32 v8, 3, v226
	v_mul_u32_u24_e32 v2, 6, v8
	v_lshlrev_b32_e32 v2, 4, v2
	s_waitcnt lgkmcnt(0)
	; wave barrier
	s_waitcnt lgkmcnt(0)
	global_load_dwordx4 v[44:47], v2, s[8:9]
	global_load_dwordx4 v[48:51], v2, s[8:9] offset:16
	global_load_dwordx4 v[76:79], v2, s[8:9] offset:32
	;; [unrolled: 1-line block ×5, first 2 shown]
	ds_read_b64 v[60:61], v227
	v_add_u32_e32 v6, v90, v32
	ds_read2_b64 v[62:65], v99 offset0:48 offset1:104
	ds_read2_b64 v[86:89], v196 offset0:16 offset1:72
	;; [unrolled: 1-line block ×8, first 2 shown]
	ds_read_b64 v[56:57], v191
	ds_read2_b64 v[232:235], v99 offset0:160 offset1:216
	ds_read2_b64 v[228:231], v103 offset0:80 offset1:136
	ds_read2_b64 v[2:5], v106 offset1:56
	ds_read_b64 v[54:55], v202
	ds_read2_b64 v[102:105], v102 offset0:192 offset1:248
	ds_read2_b64 v[236:239], v179 offset0:112 offset1:168
	ds_read_b64 v[24:25], v6
	ds_read2_b64 v[174:177], v190 offset0:32 offset1:88
	ds_read_b64 v[58:59], v173
	ds_read_b64 v[28:29], v227 offset:15232
	ds_read_b64 v[52:53], v203
	v_mov_b32_e32 v7, v202
	v_mov_b32_e32 v9, v203
	s_mov_b32 s4, 0x37e14327
	s_mov_b32 s2, 0x36b3c0b5
	s_mov_b32 s14, 0xe976ee23
	s_mov_b32 s12, 0x429ad128
	s_mov_b32 s5, 0x3fe948f6
	s_mov_b32 s3, 0x3fac98ee
	s_mov_b32 s15, 0xbfe11646
	s_mov_b32 s13, 0x3febfeb5
	s_mov_b32 s18, 0xaaaaaaaa
	s_mov_b32 s20, 0x5476071b
	s_mov_b32 s24, 0xb247c609
	s_mov_b32 s19, 0xbff2aaaa
	s_mov_b32 s21, 0x3fe77f67
	s_mov_b32 s23, 0xbfe77f67
	s_mov_b32 s22, s20
	s_mov_b32 s25, 0x3fd5d0dc
	s_mov_b32 s29, 0xbfd5d0dc
	s_mov_b32 s28, s24
	s_mov_b32 s26, 0x37c3f68c
	s_mov_b32 s27, 0x3fdc38aa
	s_waitcnt lgkmcnt(0)
	; wave barrier
	s_waitcnt lgkmcnt(0)
	v_accvgpr_write_b32 a8, v9
	v_accvgpr_write_b32 a4, v191
	;; [unrolled: 1-line block ×4, first 2 shown]
	v_cmp_gt_u32_e64 s[0:1], 28, v226
	s_waitcnt vmcnt(5)
	v_mul_f64 v[96:97], v[244:245], v[46:47]
	s_waitcnt vmcnt(4)
	v_mul_f64 v[36:37], v[62:63], v[50:51]
	;; [unrolled: 2-line block ×3, first 2 shown]
	v_mul_f64 v[106:107], v[134:135], v[78:79]
	s_waitcnt vmcnt(1)
	v_mul_f64 v[74:75], v[92:93], v[222:223]
	v_mul_f64 v[194:195], v[12:13], v[222:223]
	v_fma_f64 v[216:217], v[12:13], v[220:221], -v[74:75]
	v_mul_f64 v[12:13], v[232:233], v[50:51]
	v_fma_f64 v[202:203], v[134:135], v[76:77], -v[108:109]
	v_fma_f64 v[134:135], v[126:127], v[48:49], -v[12:13]
	v_mul_f64 v[12:13], v[250:251], v[78:79]
	v_mul_f64 v[158:159], v[150:151], v[50:51]
	;; [unrolled: 1-line block ×6, first 2 shown]
	v_fma_f64 v[210:211], v[150:151], v[48:49], -v[36:37]
	v_fma_f64 v[150:151], v[138:139], v[44:45], -v[96:97]
	v_fma_f64 v[138:139], v[136:137], v[76:77], -v[12:13]
	v_mul_f64 v[12:13], v[228:229], v[182:183]
	v_mul_f64 v[162:163], v[146:147], v[182:183]
	s_waitcnt vmcnt(0)
	v_mul_f64 v[84:85], v[80:81], v[242:243]
	v_mul_f64 v[164:165], v[130:131], v[222:223]
	;; [unrolled: 1-line block ×3, first 2 shown]
	v_fma_f64 v[214:215], v[146:147], v[180:181], -v[70:71]
	v_fma_f64 v[204:205], v[130:131], v[220:221], -v[188:189]
	v_fma_f64 v[130:131], v[140:141], v[44:45], -v[198:199]
	v_fma_f64 v[140:141], v[122:123], v[180:181], -v[12:13]
	v_mul_f64 v[12:13], v[254:255], v[222:223]
	v_mul_f64 v[146:147], v[118:119], v[242:243]
	;; [unrolled: 1-line block ×3, first 2 shown]
	v_fma_f64 v[218:219], v[142:143], v[240:241], -v[84:85]
	v_fma_f64 v[142:143], v[132:133], v[220:221], -v[12:13]
	v_mul_f64 v[12:13], v[2:3], v[242:243]
	v_fmac_f64_e32 v[146:147], v[2:3], v[240:241]
	v_mul_f64 v[2:3], v[102:103], v[46:47]
	v_fmac_f64_e32 v[200:201], v[80:81], v[240:241]
	v_fma_f64 v[80:81], v[114:115], v[44:45], -v[2:3]
	v_mul_f64 v[2:3], v[234:235], v[50:51]
	v_mul_f64 v[166:167], v[144:145], v[242:243]
	v_fma_f64 v[84:85], v[128:129], v[48:49], -v[2:3]
	v_mul_f64 v[2:3], v[236:237], v[78:79]
	v_mul_f64 v[192:193], v[82:83], v[242:243]
	v_fmac_f64_e32 v[194:195], v[92:93], v[220:221]
	v_fmac_f64_e32 v[166:167], v[82:83], v[240:241]
	v_mul_f64 v[82:83], v[114:115], v[46:47]
	v_fma_f64 v[92:93], v[110:111], v[76:77], -v[2:3]
	v_mul_f64 v[2:3], v[230:231], v[182:183]
	v_fmac_f64_e32 v[82:83], v[102:103], v[44:45]
	v_fma_f64 v[102:103], v[124:125], v[180:181], -v[2:3]
	v_mul_f64 v[2:3], v[174:175], v[222:223]
	v_mul_f64 v[96:97], v[110:111], v[78:79]
	v_fma_f64 v[110:111], v[14:15], v[220:221], -v[2:3]
	v_mul_f64 v[2:3], v[4:5], v[242:243]
	v_fma_f64 v[206:207], v[144:145], v[240:241], -v[192:193]
	v_fma_f64 v[144:145], v[118:119], v[240:241], -v[12:13]
	;; [unrolled: 1-line block ×3, first 2 shown]
	v_mul_f64 v[2:3], v[104:105], v[46:47]
	v_fmac_f64_e32 v[158:159], v[62:63], v[48:49]
	v_fma_f64 v[62:63], v[116:117], v[44:45], -v[2:3]
	v_mul_f64 v[2:3], v[86:87], v[50:51]
	v_fmac_f64_e32 v[162:163], v[66:67], v[180:181]
	v_fma_f64 v[66:67], v[18:19], v[48:49], -v[2:3]
	v_mul_f64 v[2:3], v[238:239], v[78:79]
	v_mul_f64 v[40:41], v[88:89], v[78:79]
	;; [unrolled: 1-line block ×5, first 2 shown]
	v_fma_f64 v[70:71], v[112:113], v[76:77], -v[2:3]
	v_mul_f64 v[74:75], v[112:113], v[78:79]
	v_mul_f64 v[2:3], v[90:91], v[182:183]
	;; [unrolled: 1-line block ×4, first 2 shown]
	v_fma_f64 v[212:213], v[20:21], v[76:77], -v[40:41]
	v_fmac_f64_e32 v[160:161], v[88:89], v[76:77]
	v_fmac_f64_e32 v[106:107], v[248:249], v[76:77]
	;; [unrolled: 1-line block ×5, first 2 shown]
	v_mul_f64 v[68:69], v[18:19], v[50:51]
	v_fmac_f64_e32 v[74:75], v[238:239], v[76:77]
	v_fma_f64 v[76:77], v[10:11], v[180:181], -v[2:3]
	v_mul_f64 v[2:3], v[176:177], v[222:223]
	v_mul_f64 v[156:157], v[42:43], v[46:47]
	;; [unrolled: 1-line block ×4, first 2 shown]
	v_fma_f64 v[208:209], v[42:43], v[44:45], -v[32:33]
	v_fmac_f64_e32 v[68:69], v[86:87], v[48:49]
	v_fma_f64 v[86:87], v[16:17], v[220:221], -v[2:3]
	v_mul_f64 v[2:3], v[28:29], v[242:243]
	v_fmac_f64_e32 v[156:157], v[24:25], v[44:45]
	v_fma_f64 v[152:153], v[152:153], v[48:49], -v[100:101]
	v_fmac_f64_e32 v[98:99], v[64:65], v[48:49]
	v_mul_f64 v[120:121], v[120:121], v[242:243]
	v_mul_f64 v[64:65], v[116:117], v[46:47]
	;; [unrolled: 1-line block ×3, first 2 shown]
	v_fma_f64 v[100:101], v[38:39], v[240:241], -v[2:3]
	v_add_f64 v[2:3], v[208:209], v[218:219]
	v_add_f64 v[10:11], v[210:211], v[216:217]
	v_mul_f64 v[114:115], v[14:15], v[222:223]
	v_fmac_f64_e32 v[120:121], v[4:5], v[240:241]
	v_fmac_f64_e32 v[64:65], v[104:105], v[44:45]
	;; [unrolled: 1-line block ×3, first 2 shown]
	v_mul_f64 v[90:91], v[16:17], v[222:223]
	v_mul_f64 v[104:105], v[38:39], v[242:243]
	v_add_f64 v[4:5], v[156:157], -v[200:201]
	v_add_f64 v[12:13], v[158:159], -v[194:195]
	v_add_f64 v[14:15], v[212:213], v[214:215]
	v_add_f64 v[16:17], v[162:163], -v[160:161]
	v_add_f64 v[18:19], v[10:11], v[2:3]
	v_fmac_f64_e32 v[104:105], v[28:29], v[240:241]
	v_add_f64 v[20:21], v[10:11], -v[2:3]
	v_add_f64 v[2:3], v[2:3], -v[14:15]
	;; [unrolled: 1-line block ×3, first 2 shown]
	v_add_f64 v[24:25], v[16:17], v[12:13]
	v_add_f64 v[28:29], v[16:17], -v[12:13]
	v_add_f64 v[12:13], v[12:13], -v[4:5]
	v_add_f64 v[14:15], v[14:15], v[18:19]
	v_add_f64 v[16:17], v[4:5], -v[16:17]
	v_add_f64 v[18:19], v[24:25], v[4:5]
	v_add_f64 v[4:5], v[34:35], v[14:15]
	v_mul_f64 v[2:3], v[2:3], s[4:5]
	v_mul_f64 v[24:25], v[10:11], s[2:3]
	;; [unrolled: 1-line block ×4, first 2 shown]
	v_fma_f64 v[14:15], s[18:19], v[14:15], v[4:5]
	v_fma_f64 v[24:25], v[20:21], s[20:21], -v[24:25]
	v_fma_f64 v[20:21], v[20:21], s[22:23], -v[2:3]
	v_fmac_f64_e32 v[2:3], s[2:3], v[10:11]
	v_fma_f64 v[10:11], v[12:13], s[12:13], -v[28:29]
	v_fmac_f64_e32 v[28:29], s[24:25], v[16:17]
	v_fma_f64 v[12:13], v[16:17], s[28:29], -v[32:33]
	v_add_f64 v[2:3], v[2:3], v[14:15]
	v_add_f64 v[16:17], v[24:25], v[14:15]
	;; [unrolled: 1-line block ×3, first 2 shown]
	v_fmac_f64_e32 v[28:29], s[26:27], v[18:19]
	v_fmac_f64_e32 v[12:13], s[26:27], v[18:19]
	v_fmac_f64_e32 v[94:95], v[244:245], v[44:45]
	v_fma_f64 v[148:149], v[148:149], v[180:181], -v[184:185]
	v_fmac_f64_e32 v[164:165], v[252:253], v[220:221]
	v_fmac_f64_e32 v[10:11], s[26:27], v[18:19]
	v_add_f64 v[18:19], v[28:29], v[2:3]
	v_add_f64 v[20:21], v[12:13], v[14:15]
	v_add_f64 v[12:13], v[14:15], -v[12:13]
	v_add_f64 v[2:3], v[2:3], -v[28:29]
	v_add_f64 v[14:15], v[150:151], v[206:207]
	v_add_f64 v[28:29], v[152:153], v[204:205]
	v_add_f64 v[24:25], v[16:17], -v[10:11]
	v_add_f64 v[10:11], v[10:11], v[16:17]
	v_add_f64 v[16:17], v[94:95], -v[166:167]
	v_add_f64 v[32:33], v[98:99], -v[164:165]
	v_add_f64 v[34:35], v[202:203], v[148:149]
	v_add_f64 v[36:37], v[154:155], -v[106:107]
	v_add_f64 v[38:39], v[28:29], v[14:15]
	v_fmac_f64_e32 v[72:73], v[246:247], v[44:45]
	v_add_f64 v[40:41], v[28:29], -v[14:15]
	v_add_f64 v[14:15], v[14:15], -v[34:35]
	;; [unrolled: 1-line block ×3, first 2 shown]
	v_add_f64 v[42:43], v[36:37], v[32:33]
	v_add_f64 v[44:45], v[36:37], -v[32:33]
	v_add_f64 v[32:33], v[32:33], -v[16:17]
	v_add_f64 v[34:35], v[34:35], v[38:39]
	v_add_f64 v[36:37], v[16:17], -v[36:37]
	v_add_f64 v[16:17], v[42:43], v[16:17]
	v_add_f64 v[30:31], v[30:31], v[34:35]
	v_mul_f64 v[14:15], v[14:15], s[4:5]
	v_mul_f64 v[38:39], v[28:29], s[2:3]
	;; [unrolled: 1-line block ×4, first 2 shown]
	v_fma_f64 v[34:35], s[18:19], v[34:35], v[30:31]
	v_fma_f64 v[38:39], v[40:41], s[20:21], -v[38:39]
	v_fma_f64 v[40:41], v[40:41], s[22:23], -v[14:15]
	v_fmac_f64_e32 v[14:15], s[2:3], v[28:29]
	v_fma_f64 v[28:29], v[32:33], s[12:13], -v[42:43]
	v_fmac_f64_e32 v[42:43], s[24:25], v[36:37]
	v_fma_f64 v[32:33], v[36:37], s[28:29], -v[44:45]
	v_mul_f64 v[126:127], v[126:127], v[50:51]
	v_mul_f64 v[122:123], v[122:123], v[182:183]
	;; [unrolled: 1-line block ×3, first 2 shown]
	v_add_f64 v[14:15], v[14:15], v[34:35]
	v_add_f64 v[36:37], v[38:39], v[34:35]
	;; [unrolled: 1-line block ×3, first 2 shown]
	v_fmac_f64_e32 v[42:43], s[26:27], v[16:17]
	v_fmac_f64_e32 v[32:33], s[26:27], v[16:17]
	;; [unrolled: 1-line block ×5, first 2 shown]
	v_mul_f64 v[88:89], v[128:129], v[50:51]
	v_fmac_f64_e32 v[28:29], s[26:27], v[16:17]
	v_add_f64 v[16:17], v[42:43], v[14:15]
	v_add_f64 v[38:39], v[32:33], v[34:35]
	v_add_f64 v[32:33], v[34:35], -v[32:33]
	v_add_f64 v[14:15], v[14:15], -v[42:43]
	v_add_f64 v[34:35], v[130:131], v[144:145]
	v_add_f64 v[42:43], v[134:135], v[142:143]
	v_fmac_f64_e32 v[88:89], v[234:235], v[48:49]
	v_add_f64 v[40:41], v[36:37], -v[28:29]
	v_add_f64 v[28:29], v[28:29], v[36:37]
	v_add_f64 v[36:37], v[72:73], -v[146:147]
	v_add_f64 v[44:45], v[126:127], -v[132:133]
	v_add_f64 v[46:47], v[138:139], v[140:141]
	v_add_f64 v[48:49], v[122:123], -v[136:137]
	v_add_f64 v[50:51], v[42:43], v[34:35]
	v_mul_f64 v[108:109], v[124:125], v[182:183]
	v_add_f64 v[112:113], v[42:43], -v[34:35]
	v_add_f64 v[34:35], v[34:35], -v[46:47]
	;; [unrolled: 1-line block ×3, first 2 shown]
	v_add_f64 v[116:117], v[48:49], v[44:45]
	v_add_f64 v[124:125], v[48:49], -v[44:45]
	v_add_f64 v[44:45], v[44:45], -v[36:37]
	v_add_f64 v[46:47], v[46:47], v[50:51]
	v_add_f64 v[48:49], v[36:37], -v[48:49]
	v_add_f64 v[36:37], v[116:117], v[36:37]
	v_add_f64 v[26:27], v[26:27], v[46:47]
	v_mul_f64 v[34:35], v[34:35], s[4:5]
	v_mul_f64 v[50:51], v[42:43], s[2:3]
	;; [unrolled: 1-line block ×4, first 2 shown]
	v_fma_f64 v[46:47], s[18:19], v[46:47], v[26:27]
	v_fma_f64 v[50:51], v[112:113], s[20:21], -v[50:51]
	v_fma_f64 v[112:113], v[112:113], s[22:23], -v[34:35]
	v_fmac_f64_e32 v[34:35], s[2:3], v[42:43]
	v_fma_f64 v[42:43], v[44:45], s[12:13], -v[116:117]
	v_fma_f64 v[44:45], v[48:49], s[28:29], -v[124:125]
	v_fmac_f64_e32 v[116:117], s[24:25], v[48:49]
	v_add_f64 v[34:35], v[34:35], v[46:47]
	v_add_f64 v[48:49], v[50:51], v[46:47]
	;; [unrolled: 1-line block ×3, first 2 shown]
	v_fmac_f64_e32 v[44:45], s[26:27], v[36:37]
	v_fmac_f64_e32 v[108:109], v[230:231], v[180:181]
	;; [unrolled: 1-line block ×4, first 2 shown]
	v_add_f64 v[50:51], v[44:45], v[46:47]
	v_add_f64 v[44:45], v[46:47], -v[44:45]
	v_add_f64 v[46:47], v[80:81], v[118:119]
	v_add_f64 v[112:113], v[84:85], v[110:111]
	v_fmac_f64_e32 v[90:91], v[176:177], v[220:221]
	v_fmac_f64_e32 v[42:43], s[26:27], v[36:37]
	v_add_f64 v[36:37], v[116:117], v[34:35]
	v_add_f64 v[34:35], v[34:35], -v[116:117]
	v_add_f64 v[116:117], v[88:89], -v[114:115]
	v_add_f64 v[128:129], v[92:93], v[102:103]
	v_add_f64 v[174:175], v[108:109], -v[96:97]
	v_add_f64 v[176:177], v[112:113], v[46:47]
	;; [unrolled: 2-line block ×3, first 2 shown]
	v_add_f64 v[48:49], v[82:83], -v[120:121]
	v_add_f64 v[180:181], v[112:113], -v[46:47]
	;; [unrolled: 1-line block ×4, first 2 shown]
	v_add_f64 v[182:183], v[174:175], v[116:117]
	v_add_f64 v[184:185], v[174:175], -v[116:117]
	v_add_f64 v[128:129], v[128:129], v[176:177]
	v_add_f64 v[174:175], v[48:49], -v[174:175]
	v_add_f64 v[116:117], v[116:117], -v[48:49]
	v_add_f64 v[48:49], v[182:183], v[48:49]
	v_add_f64 v[22:23], v[22:23], v[128:129]
	v_mul_f64 v[46:47], v[46:47], s[4:5]
	v_mul_f64 v[176:177], v[112:113], s[2:3]
	;; [unrolled: 1-line block ×4, first 2 shown]
	v_fma_f64 v[128:129], s[18:19], v[128:129], v[22:23]
	v_fma_f64 v[176:177], v[180:181], s[20:21], -v[176:177]
	v_fma_f64 v[180:181], v[180:181], s[22:23], -v[46:47]
	v_fmac_f64_e32 v[46:47], s[2:3], v[112:113]
	v_fma_f64 v[112:113], v[116:117], s[12:13], -v[182:183]
	v_fmac_f64_e32 v[182:183], s[24:25], v[174:175]
	v_fma_f64 v[116:117], v[174:175], s[28:29], -v[184:185]
	v_add_f64 v[46:47], v[46:47], v[128:129]
	v_add_f64 v[174:175], v[176:177], v[128:129]
	v_fmac_f64_e32 v[182:183], s[26:27], v[48:49]
	v_fmac_f64_e32 v[112:113], s[26:27], v[48:49]
	v_add_f64 v[128:129], v[180:181], v[128:129]
	v_fmac_f64_e32 v[116:117], s[26:27], v[48:49]
	v_add_f64 v[48:49], v[182:183], v[46:47]
	v_add_f64 v[180:181], v[174:175], -v[112:113]
	v_add_f64 v[174:175], v[112:113], v[174:175]
	v_add_f64 v[46:47], v[46:47], -v[182:183]
	v_add_f64 v[112:113], v[62:63], v[100:101]
	v_add_f64 v[182:183], v[66:67], v[86:87]
	;; [unrolled: 1-line block ×3, first 2 shown]
	v_add_f64 v[128:129], v[128:129], -v[116:117]
	v_add_f64 v[116:117], v[64:65], -v[104:105]
	;; [unrolled: 1-line block ×3, first 2 shown]
	v_add_f64 v[188:189], v[70:71], v[76:77]
	v_add_f64 v[192:193], v[78:79], -v[74:75]
	v_add_f64 v[198:199], v[182:183], v[112:113]
	v_add_f64 v[220:221], v[182:183], -v[112:113]
	v_add_f64 v[112:113], v[112:113], -v[188:189]
	;; [unrolled: 1-line block ×3, first 2 shown]
	v_add_f64 v[222:223], v[192:193], v[184:185]
	v_add_f64 v[224:225], v[192:193], -v[184:185]
	v_add_f64 v[184:185], v[184:185], -v[116:117]
	v_add_f64 v[188:189], v[188:189], v[198:199]
	v_add_f64 v[192:193], v[116:117], -v[192:193]
	v_add_f64 v[116:117], v[222:223], v[116:117]
	v_add_f64 v[198:199], v[0:1], v[188:189]
	v_mul_f64 v[0:1], v[112:113], s[4:5]
	v_mul_f64 v[112:113], v[182:183], s[2:3]
	;; [unrolled: 1-line block ×4, first 2 shown]
	v_fma_f64 v[188:189], s[18:19], v[188:189], v[198:199]
	v_fma_f64 v[112:113], v[220:221], s[20:21], -v[112:113]
	v_fma_f64 v[220:221], v[220:221], s[22:23], -v[0:1]
	v_fmac_f64_e32 v[0:1], s[2:3], v[182:183]
	v_fma_f64 v[182:183], v[184:185], s[12:13], -v[222:223]
	v_fmac_f64_e32 v[222:223], s[24:25], v[192:193]
	v_fma_f64 v[184:185], v[192:193], s[28:29], -v[224:225]
	v_add_f64 v[0:1], v[0:1], v[188:189]
	v_add_f64 v[112:113], v[112:113], v[188:189]
	;; [unrolled: 1-line block ×3, first 2 shown]
	v_fmac_f64_e32 v[222:223], s[26:27], v[116:117]
	v_fmac_f64_e32 v[184:185], s[26:27], v[116:117]
	v_add_f64 v[192:193], v[222:223], v[0:1]
	v_add_f64 v[220:221], v[184:185], v[188:189]
	v_add_f64 v[184:185], v[188:189], -v[184:185]
	v_add_f64 v[188:189], v[0:1], -v[222:223]
	v_mov_b32_e32 v1, v6
	v_lshrrev_b32_e32 v6, 2, v226
	v_mul_u32_u24_e32 v6, 28, v6
	v_fmac_f64_e32 v[182:183], s[26:27], v[116:117]
	v_or_b32_e32 v6, v6, v8
	v_add_f64 v[224:225], v[112:113], -v[182:183]
	v_add_f64 v[182:183], v[182:183], v[112:113]
	v_lshl_add_u32 v112, v6, 3, 0
	ds_write2_b64 v112, v[4:5], v[18:19] offset1:4
	ds_write2_b64 v112, v[20:21], v[24:25] offset0:8 offset1:12
	ds_write2_b64 v112, v[10:11], v[12:13] offset0:16 offset1:20
	ds_write_b64 v112, v[2:3] offset:192
	v_lshrrev_b32_e32 v2, 2, v172
	v_mul_lo_u32 v2, v2, 28
	v_or_b32_e32 v2, v2, v8
	v_lshl_add_u32 v113, v2, 3, 0
	v_lshrrev_b32_e32 v2, 2, v187
	v_mul_lo_u32 v2, v2, 28
	v_or_b32_e32 v2, v2, v8
	v_lshl_add_u32 v116, v2, 3, 0
	;; [unrolled: 4-line block ×3, first 2 shown]
	ds_write2_b64 v113, v[30:31], v[16:17] offset1:4
	ds_write2_b64 v113, v[38:39], v[40:41] offset0:8 offset1:12
	ds_write2_b64 v113, v[28:29], v[32:33] offset0:16 offset1:20
	ds_write_b64 v113, v[14:15] offset:192
	ds_write2_b64 v116, v[26:27], v[36:37] offset1:4
	ds_write2_b64 v116, v[50:51], v[124:125] offset0:8 offset1:12
	ds_write2_b64 v116, v[42:43], v[44:45] offset0:16 offset1:20
	ds_write_b64 v116, v[34:35] offset:192
	ds_write2_b64 v117, v[22:23], v[48:49] offset1:4
	ds_write2_b64 v117, v[176:177], v[180:181] offset0:8 offset1:12
	ds_write2_b64 v117, v[174:175], v[128:129] offset0:16 offset1:20
	ds_write_b64 v117, v[46:47] offset:192
	v_accvgpr_read_b32 v181, a7
	v_lshrrev_b32_e32 v2, 2, v181
	v_mul_lo_u32 v2, v2, 28
	v_accvgpr_read_b32 v229, a11
	v_or_b32_e32 v2, v2, v8
	v_accvgpr_read_b32 v228, a10
	v_lshl_add_u32 v124, v2, 3, 0
	v_lshl_add_u32 v2, v228, 3, 0
	;; [unrolled: 1-line block ×3, first 2 shown]
	v_accvgpr_read_b32 v230, a0
	ds_write2_b64 v124, v[198:199], v[192:193] offset1:4
	ds_write2_b64 v124, v[220:221], v[224:225] offset0:8 offset1:12
	ds_write2_b64 v124, v[182:183], v[184:185] offset0:16 offset1:20
	v_accvgpr_write_b32 a18, v188
	ds_write_b64 v124, v[188:189] offset:192
	s_waitcnt lgkmcnt(0)
	; wave barrier
	s_waitcnt lgkmcnt(0)
	ds_read_b64 v[198:199], v227
	ds_read2_b64 v[36:39], v179 offset0:84 offset1:140
	ds_read_b64 a[22:23], v191
	ds_read2_b64 v[32:35], v178 offset0:68 offset1:124
	ds_read2_b64 v[24:27], v178 offset0:180 offset1:236
	ds_read_b64 v[184:185], v7
	ds_read_b64 v[182:183], v9
	;; [unrolled: 1-line block ×4, first 2 shown]
	v_accvgpr_write_b32 a9, v0
	v_lshl_add_u32 v0, v230, 3, 0
	v_add_u32_e32 v125, 0xc00, v227
	v_add_u32_e32 v128, 0x1200, v227
	;; [unrolled: 1-line block ×3, first 2 shown]
	v_accvgpr_write_b32 a19, v189
	ds_read2_b64 v[12:15], v186 offset0:36 offset1:92
	ds_read2_b64 v[28:31], v186 offset0:148 offset1:204
	;; [unrolled: 1-line block ×5, first 2 shown]
	v_add_u32_e32 v240, 0x2d8, v226
	v_lshl_add_u32 v129, v241, 3, 0
	ds_read_b64 v[188:189], v0
	ds_read_b64 v[176:177], v129
	ds_read2_b64 v[20:23], v190 offset0:116 offset1:172
	v_add_u32_e32 v221, 0x3400, v227
	v_lshl_add_u32 v220, v240, 3, 0
	ds_read_b64 v[192:193], v1
	ds_read_b64 v[190:191], v220
	ds_read2_b64 v[16:19], v221 offset0:100 offset1:156
	ds_read2_b64 v[48:51], v196 offset0:72 offset1:128
	ds_read_b64 v[178:179], v173
	ds_read_b64 a[20:21], v227 offset:15008
	v_accvgpr_read_b32 v180, a6
	v_accvgpr_write_b32 a12, v2
	v_accvgpr_write_b32 a13, v0
	s_and_saveexec_b64 s[30:31], s[0:1]
	s_cbranch_execz .LBB0_21
; %bb.20:
	ds_read_b64 a[18:19], v227 offset:7616
	ds_read_b64 a[14:15], v227 offset:15456
.LBB0_21:
	s_or_b64 exec, exec, s[30:31]
	v_add_f64 v[2:3], v[156:157], v[200:201]
	v_add_f64 v[158:159], v[158:159], v[194:195]
	v_add_f64 v[156:157], v[208:209], -v[218:219]
	v_add_f64 v[174:175], v[210:211], -v[216:217]
	v_add_f64 v[160:161], v[160:161], v[162:163]
	v_add_f64 v[162:163], v[214:215], -v[212:213]
	v_add_f64 v[194:195], v[158:159], v[2:3]
	v_add_f64 v[200:201], v[158:159], -v[2:3]
	v_add_f64 v[2:3], v[2:3], -v[160:161]
	;; [unrolled: 1-line block ×3, first 2 shown]
	v_add_f64 v[208:209], v[162:163], v[174:175]
	v_add_f64 v[210:211], v[162:163], -v[174:175]
	v_add_f64 v[174:175], v[174:175], -v[156:157]
	v_add_f64 v[160:161], v[160:161], v[194:195]
	v_add_f64 v[162:163], v[156:157], -v[162:163]
	v_add_f64 v[156:157], v[208:209], v[156:157]
	v_add_f64 v[60:61], v[60:61], v[160:161]
	v_mul_f64 v[2:3], v[2:3], s[4:5]
	v_mul_f64 v[194:195], v[158:159], s[2:3]
	;; [unrolled: 1-line block ×4, first 2 shown]
	v_fma_f64 v[160:161], s[18:19], v[160:161], v[60:61]
	v_fma_f64 v[194:195], v[200:201], s[20:21], -v[194:195]
	v_fma_f64 v[200:201], v[200:201], s[22:23], -v[2:3]
	v_fmac_f64_e32 v[2:3], s[2:3], v[158:159]
	v_fma_f64 v[158:159], v[174:175], s[12:13], -v[208:209]
	v_fmac_f64_e32 v[208:209], s[24:25], v[162:163]
	v_fma_f64 v[162:163], v[162:163], s[28:29], -v[210:211]
	v_add_f64 v[94:95], v[94:95], v[166:167]
	v_add_f64 v[98:99], v[98:99], v[164:165]
	;; [unrolled: 1-line block ×11, first 2 shown]
	v_fmac_f64_e32 v[162:163], s[26:27], v[156:157]
	v_add_f64 v[150:151], v[150:151], -v[206:207]
	v_add_f64 v[152:153], v[152:153], -v[204:205]
	v_add_f64 v[106:107], v[106:107], v[154:155]
	v_add_f64 v[148:149], v[148:149], -v[202:203]
	v_add_f64 v[154:155], v[98:99], v[94:95]
	v_add_f64 v[130:131], v[130:131], -v[144:145]
	v_add_f64 v[132:133], v[134:135], -v[142:143]
	v_add_f64 v[122:123], v[136:137], v[122:123]
	v_add_f64 v[134:135], v[140:141], -v[138:139]
	v_add_f64 v[136:137], v[126:127], v[72:73]
	;; [unrolled: 5-line block ×4, first 2 shown]
	v_add_f64 v[200:201], v[160:161], -v[162:163]
	v_add_f64 v[160:161], v[162:163], v[160:161]
	v_add_f64 v[162:163], v[98:99], -v[94:95]
	v_add_f64 v[94:95], v[94:95], -v[106:107]
	v_add_f64 v[98:99], v[106:107], -v[98:99]
	v_add_f64 v[164:165], v[148:149], v[152:153]
	v_add_f64 v[166:167], v[148:149], -v[152:153]
	v_add_f64 v[152:153], v[152:153], -v[150:151]
	v_add_f64 v[106:107], v[106:107], v[154:155]
	v_add_f64 v[138:139], v[126:127], -v[72:73]
	v_add_f64 v[72:73], v[72:73], -v[122:123]
	v_add_f64 v[126:127], v[122:123], -v[126:127]
	v_add_f64 v[140:141], v[134:135], v[132:133]
	v_add_f64 v[142:143], v[134:135], -v[132:133]
	;; [unrolled: 7-line block ×4, first 2 shown]
	v_add_f64 v[66:67], v[66:67], -v[62:63]
	v_add_f64 v[74:75], v[74:75], v[76:77]
	v_add_f64 v[148:149], v[150:151], -v[148:149]
	v_add_f64 v[150:151], v[164:165], v[150:151]
	v_add_f64 v[58:59], v[58:59], v[106:107]
	v_mul_f64 v[94:95], v[94:95], s[4:5]
	v_mul_f64 v[154:155], v[98:99], s[2:3]
	v_mul_f64 v[164:165], v[166:167], s[14:15]
	v_mul_f64 v[166:167], v[152:153], s[12:13]
	v_add_f64 v[134:135], v[130:131], -v[134:135]
	v_add_f64 v[130:131], v[140:141], v[130:131]
	v_add_f64 v[56:57], v[56:57], v[122:123]
	v_mul_f64 v[72:73], v[72:73], s[4:5]
	v_mul_f64 v[136:137], v[126:127], s[2:3]
	v_mul_f64 v[140:141], v[142:143], s[14:15]
	v_mul_f64 v[142:143], v[132:133], s[12:13]
	;; [unrolled: 7-line block ×4, first 2 shown]
	v_fmac_f64_e32 v[208:209], s[26:27], v[156:157]
	v_fma_f64 v[106:107], s[18:19], v[106:107], v[58:59]
	v_fma_f64 v[154:155], v[162:163], s[20:21], -v[154:155]
	v_fma_f64 v[162:163], v[162:163], s[22:23], -v[94:95]
	v_fmac_f64_e32 v[94:95], s[2:3], v[98:99]
	v_fma_f64 v[98:99], v[152:153], s[12:13], -v[164:165]
	v_fmac_f64_e32 v[164:165], s[24:25], v[148:149]
	v_fma_f64 v[148:149], v[148:149], s[28:29], -v[166:167]
	v_fma_f64 v[122:123], s[18:19], v[122:123], v[56:57]
	v_fma_f64 v[136:137], v[138:139], s[20:21], -v[136:137]
	v_fma_f64 v[138:139], v[138:139], s[22:23], -v[72:73]
	v_fmac_f64_e32 v[72:73], s[2:3], v[126:127]
	v_fma_f64 v[126:127], v[132:133], s[12:13], -v[140:141]
	v_fmac_f64_e32 v[140:141], s[24:25], v[134:135]
	v_fma_f64 v[132:133], v[134:135], s[28:29], -v[142:143]
	;; [unrolled: 7-line block ×4, first 2 shown]
	v_fmac_f64_e32 v[158:159], s[26:27], v[156:157]
	v_add_f64 v[156:157], v[2:3], -v[208:209]
	v_add_f64 v[2:3], v[208:209], v[2:3]
	v_add_f64 v[94:95], v[94:95], v[106:107]
	;; [unrolled: 1-line block ×4, first 2 shown]
	v_fmac_f64_e32 v[164:165], s[26:27], v[150:151]
	v_fmac_f64_e32 v[98:99], s[26:27], v[150:151]
	v_fmac_f64_e32 v[148:149], s[26:27], v[150:151]
	v_add_f64 v[72:73], v[72:73], v[122:123]
	v_add_f64 v[134:135], v[136:137], v[122:123]
	v_add_f64 v[122:123], v[138:139], v[122:123]
	v_fmac_f64_e32 v[140:141], s[26:27], v[130:131]
	v_fmac_f64_e32 v[126:127], s[26:27], v[130:131]
	v_fmac_f64_e32 v[132:133], s[26:27], v[130:131]
	v_add_f64 v[82:83], v[82:83], v[96:97]
	v_add_f64 v[92:93], v[102:103], v[96:97]
	v_add_f64 v[96:97], v[108:109], v[96:97]
	;; [unrolled: 6-line block ×3, first 2 shown]
	v_fmac_f64_e32 v[86:87], s[26:27], v[62:63]
	v_fmac_f64_e32 v[66:67], s[26:27], v[62:63]
	;; [unrolled: 1-line block ×3, first 2 shown]
	v_add_f64 v[210:211], v[158:159], v[174:175]
	v_add_f64 v[158:159], v[174:175], -v[158:159]
	v_add_f64 v[150:151], v[94:95], -v[164:165]
	;; [unrolled: 1-line block ×3, first 2 shown]
	v_add_f64 v[162:163], v[98:99], v[152:153]
	v_add_f64 v[98:99], v[152:153], -v[98:99]
	v_add_f64 v[106:107], v[148:149], v[106:107]
	v_add_f64 v[94:95], v[164:165], v[94:95]
	v_add_f64 v[130:131], v[72:73], -v[140:141]
	v_add_f64 v[136:137], v[122:123], -v[132:133]
	v_add_f64 v[138:139], v[126:127], v[134:135]
	v_add_f64 v[126:127], v[134:135], -v[126:127]
	v_add_f64 v[122:123], v[132:133], v[122:123]
	v_add_f64 v[72:73], v[140:141], v[72:73]
	v_add_f64 v[80:81], v[82:83], -v[110:111]
	v_add_f64 v[102:103], v[96:97], -v[88:89]
	;; [unrolled: 6-line block ×3, first 2 shown]
	v_add_f64 v[78:79], v[66:67], v[70:71]
	v_add_f64 v[66:67], v[70:71], -v[66:67]
	v_add_f64 v[68:69], v[68:69], v[74:75]
	v_add_f64 v[4:5], v[86:87], v[64:65]
	s_waitcnt lgkmcnt(0)
	; wave barrier
	s_waitcnt lgkmcnt(0)
	ds_write2_b64 v112, v[60:61], v[156:157] offset1:4
	ds_write2_b64 v112, v[200:201], v[210:211] offset0:8 offset1:12
	ds_write2_b64 v112, v[158:159], v[160:161] offset0:16 offset1:20
	ds_write_b64 v112, v[2:3] offset:192
	ds_write2_b64 v113, v[58:59], v[150:151] offset1:4
	ds_write2_b64 v113, v[154:155], v[162:163] offset0:8 offset1:12
	ds_write2_b64 v113, v[98:99], v[106:107] offset0:16 offset1:20
	ds_write_b64 v113, v[94:95] offset:192
	;; [unrolled: 4-line block ×4, first 2 shown]
	ds_write2_b64 v124, v[52:53], v[62:63] offset1:4
	ds_write2_b64 v124, v[76:77], v[78:79] offset0:8 offset1:12
	ds_write2_b64 v124, v[66:67], v[68:69] offset0:16 offset1:20
	v_add_u32_e32 v2, 0x1c00, v227
	v_accvgpr_read_b32 v0, a4
	ds_write_b64 v124, v[4:5] offset:192
	s_waitcnt lgkmcnt(0)
	; wave barrier
	s_waitcnt lgkmcnt(0)
	ds_read_b64 a[28:29], v227
	ds_read_b64 a[30:31], v0
	ds_read2_b64 v[92:95], v2 offset0:84 offset1:140
	v_add_u32_e32 v2, 0x2000, v227
	v_accvgpr_read_b32 v0, a5
	ds_read2_b64 v[88:91], v2 offset0:68 offset1:124
	ds_read2_b64 v[84:87], v2 offset0:180 offset1:236
	ds_read_b64 v[214:215], v0
	v_accvgpr_read_b32 v0, a8
	ds_read_b64 v[212:213], v0
	v_accvgpr_read_b32 v0, a12
	v_add_u32_e32 v2, 0x2800, v227
	ds_read_b64 v[210:211], v0
	v_accvgpr_read_b32 v0, a9
	ds_read2_b64 v[76:79], v2 offset0:36 offset1:92
	ds_read_b64 v[208:209], v0
	ds_read2_b64 v[80:83], v2 offset0:148 offset1:204
	ds_read2_b64 v[60:63], v125 offset0:120 offset1:176
	v_add_u32_e32 v2, 0x3000, v227
	v_accvgpr_read_b32 v0, a13
	ds_read2_b64 v[72:75], v2 offset0:4 offset1:60
	ds_read2_b64 v[52:55], v128 offset0:40 offset1:208
	ds_read_b64 v[216:217], v0
	ds_read_b64 a[32:33], v129
	ds_read2_b64 v[68:71], v2 offset0:116 offset1:172
	ds_read_b64 v[218:219], v1
	ds_read_b64 a[34:35], v220
	ds_read2_b64 v[64:67], v221 offset0:100 offset1:156
	v_add_u32_e32 v2, 0x1800, v227
	v_accvgpr_read_b32 v0, a1
	ds_read2_b64 v[56:59], v2 offset0:72 offset1:128
	ds_read_b64 v[220:221], v0
	ds_read_b64 v[222:223], v227 offset:15008
	v_accvgpr_write_b32 a27, v5
	v_accvgpr_write_b32 a26, v4
	;; [unrolled: 1-line block ×3, first 2 shown]
	s_and_saveexec_b64 s[2:3], s[0:1]
	s_cbranch_execz .LBB0_23
; %bb.22:
	ds_read_b64 a[26:27], v227 offset:7616
	ds_read_b64 a[16:17], v227 offset:15456
.LBB0_23:
	s_or_b64 exec, exec, s[2:3]
	v_lshrrev_b16_e32 v96, 2, v172
	v_and_b32_e32 v96, 63, v96
	v_mul_lo_u16_e32 v196, 37, v96
	v_mov_b32_e32 v104, 28
	v_subrev_u32_e32 v2, 28, v226
	v_mul_lo_u16_sdwa v96, v196, v104 dst_sel:DWORD dst_unused:UNUSED_PAD src0_sel:BYTE_1 src1_sel:DWORD
	v_cndmask_b32_e64 v224, v2, v226, s[0:1]
	v_mov_b32_e32 v225, 0
	v_sub_u16_e32 v0, v172, v96
	v_mov_b32_e32 v105, 4
	v_lshl_add_u64 v[2:3], v[224:225], 4, s[8:9]
	v_lshlrev_b32_sdwa v96, v105, v0 dst_sel:DWORD dst_unused:UNUSED_PAD src0_sel:DWORD src1_sel:BYTE_0
	global_load_dwordx4 v[100:103], v[2:3], off offset:384
	s_nop 0
	global_load_dwordx4 v[96:99], v96, s[8:9] offset:384
	v_lshrrev_b16_e32 v2, 2, v187
	v_and_b32_e32 v2, 63, v2
	v_accvgpr_write_b32 a38, v0
	v_mul_lo_u16_e32 v0, 37, v2
	v_mul_lo_u16_sdwa v2, v0, v104 dst_sel:DWORD dst_unused:UNUSED_PAD src0_sel:BYTE_1 src1_sel:DWORD
	v_lshrrev_b16_e32 v3, 2, v197
	v_accvgpr_write_b32 a36, v0
	v_sub_u16_e32 v0, v187, v2
	v_and_b32_e32 v3, 63, v3
	v_lshlrev_b32_sdwa v2, v105, v0 dst_sel:DWORD dst_unused:UNUSED_PAD src0_sel:DWORD src1_sel:BYTE_0
	v_accvgpr_write_b32 a37, v0
	v_mul_lo_u16_e32 v0, 37, v3
	v_mul_lo_u16_sdwa v3, v0, v104 dst_sel:DWORD dst_unused:UNUSED_PAD src0_sel:BYTE_1 src1_sel:DWORD
	v_accvgpr_write_b32 a39, v0
	v_sub_u16_e32 v0, v197, v3
	v_lshlrev_b32_sdwa v3, v105, v0 dst_sel:DWORD dst_unused:UNUSED_PAD src0_sel:DWORD src1_sel:BYTE_0
	global_load_dwordx4 v[108:111], v2, s[8:9] offset:384
	global_load_dwordx4 v[104:107], v3, s[8:9] offset:384
	v_lshrrev_b16_e32 v2, 2, v181
	v_mul_u32_u24_e32 v2, 0x4925, v2
	v_accvgpr_write_b32 a40, v0
	v_lshrrev_b32_e32 v0, 17, v2
	v_mul_lo_u16_e32 v2, 28, v0
	v_lshrrev_b16_e32 v3, 2, v180
	v_accvgpr_write_b32 a42, v0
	v_sub_u16_e32 v0, v181, v2
	v_mul_u32_u24_e32 v3, 0x4925, v3
	v_lshlrev_b32_e32 v2, 4, v0
	v_accvgpr_write_b32 a41, v0
	v_lshrrev_b32_e32 v0, 17, v3
	v_mul_lo_u16_e32 v3, 28, v0
	v_accvgpr_write_b32 a44, v0
	v_sub_u16_e32 v0, v180, v3
	v_lshlrev_b32_e32 v3, 4, v0
	global_load_dwordx4 v[116:119], v2, s[8:9] offset:384
	global_load_dwordx4 v[112:115], v3, s[8:9] offset:384
	v_lshrrev_b16_e32 v2, 2, v228
	v_mul_u32_u24_e32 v2, 0x4925, v2
	v_lshrrev_b16_e32 v3, 2, v229
	v_accvgpr_write_b32 a43, v0
	v_lshrrev_b32_e32 v0, 17, v2
	v_mul_u32_u24_e32 v3, 0x4925, v3
	v_mul_lo_u16_e32 v1, 28, v0
	v_lshrrev_b32_e32 v180, 17, v3
	v_accvgpr_write_b32 a46, v0
	v_sub_u16_e32 v0, v228, v1
	v_mul_lo_u16_e32 v3, 28, v180
	v_lshlrev_b32_e32 v2, 4, v0
	v_sub_u16_e32 v181, v229, v3
	v_add_u32_e32 v4, 0x1f8, v226
	v_lshlrev_b32_e32 v3, 4, v181
	global_load_dwordx4 v[124:127], v2, s[8:9] offset:384
	global_load_dwordx4 v[120:123], v3, s[8:9] offset:384
	v_lshrrev_b16_e32 v2, 2, v230
	v_mul_u32_u24_e32 v2, 0x4925, v2
	v_lshrrev_b16_e32 v3, 2, v4
	v_accvgpr_write_b32 a2, v187
	v_lshrrev_b32_e32 v187, 17, v2
	v_mul_u32_u24_e32 v3, 0x4925, v3
	v_accvgpr_write_b32 a3, v197
	v_mul_lo_u16_e32 v2, 28, v187
	v_lshrrev_b32_e32 v197, 17, v3
	v_accvgpr_write_b32 a45, v0
	v_sub_u16_e32 v0, v230, v2
	v_mul_lo_u16_e32 v3, 28, v197
	v_add_u32_e32 v7, 0x230, v226
	v_lshlrev_b32_e32 v2, 4, v0
	v_sub_u16_e32 v186, v4, v3
	v_add_u32_e32 v5, 0x268, v226
	v_lshlrev_b32_e32 v3, 4, v186
	global_load_dwordx4 v[132:135], v2, s[8:9] offset:384
	global_load_dwordx4 v[128:131], v3, s[8:9] offset:384
	v_lshrrev_b16_e32 v2, 2, v7
	v_mul_u32_u24_e32 v2, 0x4925, v2
	v_lshrrev_b16_e32 v3, 2, v5
	v_lshrrev_b32_e32 v195, 17, v2
	v_mul_u32_u24_e32 v3, 0x4925, v3
	v_accvgpr_write_b32 a47, v0
	v_mul_lo_u16_e32 v2, 28, v195
	v_lshrrev_b32_e32 v0, 17, v3
	v_sub_u16_e32 v174, v7, v2
	v_mul_lo_u16_e32 v3, 28, v0
	v_add_u32_e32 v6, 0x310, v226
	v_lshlrev_b32_e32 v2, 4, v174
	v_sub_u16_e32 v1, v5, v3
	v_add_u32_e32 v144, 0x348, v226
	v_lshlrev_b32_e32 v3, 4, v1
	global_load_dwordx4 v[140:143], v2, s[8:9] offset:384
	global_load_dwordx4 v[136:139], v3, s[8:9] offset:384
	v_lshrrev_b16_e32 v2, 2, v6
	v_mul_u32_u24_e32 v2, 0x4925, v2
	v_lshrrev_b16_e32 v3, 2, v144
	v_lshrrev_b32_e32 v194, 17, v2
	v_mul_u32_u24_e32 v3, 0x4925, v3
	v_mul_lo_u16_e32 v2, 28, v194
	v_lshrrev_b32_e32 v173, 17, v3
	v_accvgpr_write_b32 a0, v172
	v_sub_u16_e32 v172, v6, v2
	v_mul_lo_u16_e32 v3, 28, v173
	v_lshlrev_b32_e32 v2, 4, v172
	v_sub_u16_e32 v200, v144, v3
	global_load_dwordx4 v[152:155], v2, s[8:9] offset:384
	v_lshlrev_b32_e32 v2, 4, v200
	global_load_dwordx4 v[148:151], v2, s[8:9] offset:384
	v_or_b32_e32 v2, 0x380, v226
	v_lshrrev_b16_e32 v3, 2, v2
	v_mul_u32_u24_e32 v3, 0x4925, v3
	v_lshrrev_b32_e32 v201, 17, v3
	v_mul_lo_u16_e32 v3, 28, v201
	v_sub_u16_e32 v202, v2, v3
	v_lshlrev_b32_e32 v2, 4, v202
	global_load_dwordx4 v[156:159], v2, s[8:9] offset:384
	v_lshrrev_b16_e32 v2, 2, v241
	v_mul_u32_u24_e32 v2, 0x4925, v2
	v_lshrrev_b32_e32 v203, 17, v2
	v_mul_lo_u16_e32 v2, 28, v203
	v_sub_u16_e32 v204, v241, v2
	v_lshlrev_b32_e32 v2, 4, v204
	global_load_dwordx4 v[160:163], v2, s[8:9] offset:384
	s_waitcnt vmcnt(14) lgkmcnt(14)
	v_mul_f64 v[144:145], v[94:95], v[98:99]
	v_lshrrev_b16_e32 v2, 2, v240
	v_fma_f64 v[228:229], v[38:39], v[96:97], -v[144:145]
	s_waitcnt vmcnt(13)
	v_mul_f64 v[144:145], v[88:89], v[110:111]
	v_mul_u32_u24_e32 v2, 0x4925, v2
	v_fma_f64 v[230:231], v[32:33], v[108:109], -v[144:145]
	s_waitcnt vmcnt(12)
	v_mul_f64 v[144:145], v[90:91], v[106:107]
	v_lshrrev_b32_e32 v205, 17, v2
	v_fma_f64 v[236:237], v[34:35], v[104:105], -v[144:145]
	s_waitcnt vmcnt(11)
	v_mul_f64 v[144:145], v[84:85], v[118:119]
	v_mul_lo_u16_e32 v2, 28, v205
	v_fma_f64 v[238:239], v[24:25], v[116:117], -v[144:145]
	s_waitcnt vmcnt(10)
	v_mul_f64 v[144:145], v[86:87], v[114:115]
	v_sub_u16_e32 v206, v240, v2
	v_fma_f64 v[240:241], v[26:27], v[112:113], -v[144:145]
	s_waitcnt vmcnt(9)
	v_mul_f64 v[144:145], v[76:77], v[126:127]
	v_lshlrev_b32_e32 v2, 4, v206
	v_fma_f64 v[242:243], v[12:13], v[124:125], -v[144:145]
	s_waitcnt vmcnt(8)
	v_mul_f64 v[144:145], v[78:79], v[122:123]
	v_add_u16_e32 v4, 0x3b8, v226
	global_load_dwordx4 v[164:167], v2, s[8:9] offset:384
	v_fma_f64 v[244:245], v[14:15], v[120:121], -v[144:145]
	v_lshrrev_b16_e32 v5, 2, v4
	v_mul_u32_u24_e32 v5, 0x4925, v5
	v_lshrrev_b32_e32 v5, 17, v5
	v_mul_lo_u16_e32 v5, 28, v5
	v_sub_u16_e32 v207, v4, v5
	v_lshlrev_b32_e32 v4, 4, v207
	v_mov_b32_e32 v5, 0x1c0
	v_cmp_lt_u32_e64 s[2:3], 27, v226
	v_add_f64 v[228:229], v[178:179], -v[228:229]
	v_add_f64 v[236:237], v[184:185], -v[236:237]
	s_waitcnt vmcnt(8) lgkmcnt(12)
	v_mul_f64 v[144:145], v[80:81], v[134:135]
	v_fma_f64 v[246:247], v[28:29], v[132:133], -v[144:145]
	s_waitcnt vmcnt(7)
	v_mul_f64 v[144:145], v[82:83], v[130:131]
	v_fma_f64 v[248:249], v[30:31], v[128:129], -v[144:145]
	v_cndmask_b32_e64 v5, 0, v5, s[2:3]
	s_movk_i32 s2, 0x1c0
	s_mov_b32 s3, 0x5040100
	v_fma_f64 v[184:185], v[184:185], 2.0, -v[236:237]
	v_add_f64 v[238:239], v[182:183], -v[238:239]
	v_fma_f64 v[182:183], v[182:183], 2.0, -v[238:239]
	v_add_f64 v[240:241], v[192:193], -v[240:241]
	v_add_f64 v[242:243], v[232:233], -v[242:243]
	v_lshlrev_b32_e32 v181, 3, v181
	v_fma_f64 v[192:193], v[192:193], 2.0, -v[240:241]
	v_fma_f64 v[232:233], v[232:233], 2.0, -v[242:243]
	v_perm_b32 v0, v0, v195, s3
	s_waitcnt vmcnt(6) lgkmcnt(10)
	v_mul_f64 v[144:145], v[72:73], v[142:143]
	v_fma_f64 v[250:251], v[8:9], v[140:141], -v[144:145]
	s_waitcnt vmcnt(5)
	v_mul_f64 v[144:145], v[74:75], v[138:139]
	v_fma_f64 v[252:253], v[10:11], v[136:137], -v[144:145]
	v_pk_mul_lo_u16 v0, v0, s2 op_sel_hi:[1,0]
	v_lshlrev_b32_e32 v1, 3, v1
	v_add_f64 v[246:247], v[188:189], -v[246:247]
	v_fma_f64 v[188:189], v[188:189], 2.0, -v[246:247]
	s_waitcnt vmcnt(4) lgkmcnt(3)
	v_mul_f64 v[144:145], v[64:65], v[154:155]
	v_fma_f64 v[254:255], v[16:17], v[152:153], -v[144:145]
	s_waitcnt vmcnt(3)
	v_mul_f64 v[144:145], v[66:67], v[150:151]
	v_fma_f64 v[234:235], v[18:19], v[148:149], -v[144:145]
	global_load_dwordx4 v[144:147], v4, s[8:9] offset:384
	v_mul_f64 v[2:3], v[92:93], v[102:103]
	v_fma_f64 v[2:3], v[36:37], v[100:101], -v[2:3]
	v_add_f64 v[2:3], v[198:199], -v[2:3]
	v_lshlrev_b32_e32 v4, 3, v224
	v_fma_f64 v[198:199], v[198:199], 2.0, -v[2:3]
	v_add3_u32 v175, 0, v5, v4
	v_accvgpr_read_b32 v4, a20
	s_waitcnt lgkmcnt(0)
	; wave barrier
	s_waitcnt lgkmcnt(0)
	ds_write2_b64 v175, v[198:199], v[2:3] offset1:28
	s_waitcnt vmcnt(3)
	v_mul_f64 v[2:3], v[222:223], v[158:159]
	v_accvgpr_read_b32 v5, a21
	v_fma_f64 v[2:3], v[4:5], v[156:157], -v[2:3]
	v_add_f64 v[224:225], v[46:47], -v[250:251]
	v_add_f64 v[250:251], v[42:43], -v[254:255]
	v_fma_f64 v[254:255], v[178:179], 2.0, -v[228:229]
	v_mov_b32_e32 v178, 3
	v_accvgpr_read_b32 v5, a38
	v_mul_u32_u24_sdwa v4, v196, s2 dst_sel:DWORD dst_unused:UNUSED_PAD src0_sel:BYTE_1 src1_sel:DWORD
	v_lshlrev_b32_sdwa v5, v178, v5 dst_sel:DWORD dst_unused:UNUSED_PAD src0_sel:DWORD src1_sel:BYTE_0
	v_add3_u32 v196, 0, v4, v5
	v_accvgpr_read_b32 v4, a22
	v_accvgpr_read_b32 v5, a23
	v_add_f64 v[230:231], v[4:5], -v[230:231]
	v_add_f64 v[198:199], v[44:45], -v[248:249]
	;; [unrolled: 1-line block ×3, first 2 shown]
	s_waitcnt vmcnt(2)
	v_mul_f64 v[252:253], v[68:69], v[162:163]
	ds_write2_b64 v196, v[254:255], v[228:229] offset1:28
	v_fma_f64 v[254:255], v[4:5], 2.0, -v[230:231]
	v_accvgpr_read_b32 v4, a24
	v_fma_f64 v[252:253], v[20:21], v[160:161], -v[252:253]
	v_accvgpr_read_b32 v5, a25
	v_add_f64 v[244:245], v[4:5], -v[244:245]
	v_add_f64 v[252:253], v[176:177], -v[252:253]
	v_fma_f64 v[6:7], v[4:5], 2.0, -v[244:245]
	v_fma_f64 v[4:5], v[176:177], 2.0, -v[252:253]
	v_accvgpr_read_b32 v176, a36
	v_accvgpr_read_b32 v177, a37
	v_mul_u32_u24_sdwa v176, v176, s2 dst_sel:DWORD dst_unused:UNUSED_PAD src0_sel:BYTE_1 src1_sel:DWORD
	v_lshlrev_b32_sdwa v177, v178, v177 dst_sel:DWORD dst_unused:UNUSED_PAD src0_sel:DWORD src1_sel:BYTE_0
	v_add3_u32 v176, 0, v176, v177
	v_accvgpr_read_b32 v177, a39
	v_accvgpr_read_b32 v179, a40
	v_mul_u32_u24_sdwa v177, v177, s2 dst_sel:DWORD dst_unused:UNUSED_PAD src0_sel:BYTE_1 src1_sel:DWORD
	v_lshlrev_b32_sdwa v178, v178, v179 dst_sel:DWORD dst_unused:UNUSED_PAD src0_sel:DWORD src1_sel:BYTE_0
	v_add3_u32 v177, 0, v177, v178
	v_accvgpr_read_b32 v178, a42
	v_accvgpr_read_b32 v179, a44
	v_perm_b32 v178, v178, v179, s3
	ds_write2_b64 v176, v[254:255], v[230:231] offset1:28
	ds_write2_b64 v177, v[184:185], v[236:237] offset1:28
	v_pk_mul_lo_u16 v179, v178, s2 op_sel_hi:[1,0]
	v_accvgpr_read_b32 v184, a41
	v_lshrrev_b32_e32 v178, 16, v179
	v_lshlrev_b32_e32 v184, 3, v184
	v_add3_u32 v178, 0, v178, v184
	ds_write2_b64 v178, v[182:183], v[238:239] offset1:28
	v_accvgpr_read_b32 v182, a43
	v_and_b32_e32 v179, 0xffc0, v179
	v_lshlrev_b32_e32 v182, 3, v182
	v_add3_u32 v179, 0, v179, v182
	v_accvgpr_read_b32 v182, a46
	v_perm_b32 v180, v180, v182, s3
	v_pk_mul_lo_u16 v182, v180, s2 op_sel_hi:[1,0]
	v_accvgpr_read_b32 v183, a45
	v_and_b32_e32 v180, 0xffc0, v182
	v_lshlrev_b32_e32 v183, 3, v183
	v_lshrrev_b32_e32 v182, 16, v182
	v_add3_u32 v180, 0, v180, v183
	v_add3_u32 v181, 0, v182, v181
	ds_write2_b64 v179, v[192:193], v[240:241] offset1:28
	ds_write2_b64 v180, v[232:233], v[242:243] offset1:28
	;; [unrolled: 1-line block ×3, first 2 shown]
	v_perm_b32 v6, v197, v187, s3
	v_pk_mul_lo_u16 v6, v6, s2 op_sel_hi:[1,0]
	v_accvgpr_read_b32 v182, a47
	v_and_b32_e32 v7, 0xffc0, v6
	v_lshlrev_b32_e32 v182, 3, v182
	v_add3_u32 v182, 0, v7, v182
	v_lshrrev_b32_e32 v6, 16, v6
	v_lshlrev_b32_e32 v7, 3, v186
	v_add3_u32 v183, 0, v6, v7
	v_and_b32_e32 v6, 0xffc0, v0
	v_lshrrev_b32_e32 v0, 16, v0
	v_add3_u32 v185, 0, v0, v1
	v_perm_b32 v0, v205, v203, s3
	v_lshlrev_b32_e32 v7, 3, v174
	v_pk_mul_lo_u16 v0, v0, s2 op_sel_hi:[1,0]
	v_add3_u32 v184, 0, v6, v7
	v_and_b32_e32 v1, 0xffc0, v0
	v_lshlrev_b32_e32 v6, 3, v204
	v_add3_u32 v186, 0, v1, v6
	v_lshrrev_b32_e32 v0, 16, v0
	v_lshlrev_b32_e32 v1, 3, v206
	s_waitcnt vmcnt(1)
	v_mul_f64 v[228:229], v[70:71], v[166:167]
	v_add3_u32 v187, 0, v0, v1
	v_perm_b32 v0, v173, v194, s3
	v_fma_f64 v[44:45], v[44:45], 2.0, -v[198:199]
	v_fma_f64 v[46:47], v[46:47], 2.0, -v[224:225]
	v_fma_f64 v[40:41], v[40:41], 2.0, -v[248:249]
	v_fma_f64 v[228:229], v[22:23], v[164:165], -v[228:229]
	v_pk_mul_lo_u16 v0, v0, s2 op_sel_hi:[1,0]
	v_add_f64 v[228:229], v[190:191], -v[228:229]
	ds_write2_b64 v182, v[188:189], v[246:247] offset1:28
	ds_write2_b64 v183, v[44:45], v[198:199] offset1:28
	;; [unrolled: 1-line block ×5, first 2 shown]
	v_and_b32_e32 v1, 0xffc0, v0
	v_lshlrev_b32_e32 v4, 3, v172
	v_fma_f64 v[190:191], v[190:191], 2.0, -v[228:229]
	v_add3_u32 v189, 0, v1, v4
	v_lshrrev_b32_e32 v0, 16, v0
	v_lshlrev_b32_e32 v1, 3, v200
	v_add_f64 v[234:235], v[48:49], -v[234:235]
	v_add_f64 v[2:3], v[50:51], -v[2:3]
	ds_write2_b64 v187, v[190:191], v[228:229] offset1:28
	v_add3_u32 v190, 0, v0, v1
	v_mul_u32_u24_e32 v0, 0x1c0, v201
	v_lshlrev_b32_e32 v1, 3, v202
	v_fma_f64 v[42:43], v[42:43], 2.0, -v[250:251]
	v_fma_f64 v[48:49], v[48:49], 2.0, -v[234:235]
	v_fma_f64 v[50:51], v[50:51], 2.0, -v[2:3]
	v_add3_u32 v191, 0, v0, v1
	v_lshl_add_u32 v188, v207, 3, 0
	ds_write2_b64 v189, v[42:43], v[250:251] offset1:28
	ds_write2_b64 v190, v[48:49], v[234:235] offset1:28
	;; [unrolled: 1-line block ×3, first 2 shown]
	s_and_saveexec_b64 s[2:3], s[0:1]
	s_cbranch_execz .LBB0_25
; %bb.24:
	v_accvgpr_read_b32 v2, a16
	v_accvgpr_read_b32 v3, a17
	;; [unrolled: 1-line block ×3, first 2 shown]
	s_waitcnt vmcnt(0)
	v_mul_f64 v[2:3], v[2:3], v[146:147]
	v_accvgpr_read_b32 v5, a15
	v_accvgpr_read_b32 v0, a18
	v_fma_f64 v[2:3], v[4:5], v[144:145], -v[2:3]
	v_accvgpr_read_b32 v1, a19
	v_add_f64 v[2:3], v[0:1], -v[2:3]
	v_fma_f64 v[0:1], v[0:1], 2.0, -v[2:3]
	v_add_u32_e32 v4, 0x3800, v188
	ds_write2_b64 v4, v[0:1], v[2:3] offset0:112 offset1:140
.LBB0_25:
	s_or_b64 exec, exec, s[2:3]
	v_mul_f64 v[0:1], v[36:37], v[102:103]
	v_accvgpr_read_b32 v37, a29
	v_fmac_f64_e32 v[0:1], v[92:93], v[100:101]
	v_accvgpr_read_b32 v36, a28
	v_mul_f64 v[4:5], v[32:33], v[110:111]
	v_mul_f64 v[6:7], v[34:35], v[106:107]
	v_add_f64 v[34:35], v[36:37], -v[0:1]
	v_accvgpr_read_b32 v0, a30
	v_fmac_f64_e32 v[4:5], v[88:89], v[108:109]
	v_accvgpr_read_b32 v1, a31
	v_mul_f64 v[12:13], v[12:13], v[126:127]
	v_add_f64 v[4:5], v[0:1], -v[4:5]
	v_fmac_f64_e32 v[12:13], v[76:77], v[124:125]
	v_mul_f64 v[20:21], v[20:21], v[162:163]
	v_fma_f64 v[76:77], v[0:1], 2.0, -v[4:5]
	v_accvgpr_read_b32 v0, a32
	v_mul_f64 v[30:31], v[30:31], v[130:131]
	v_fmac_f64_e32 v[20:21], v[68:69], v[160:161]
	v_accvgpr_read_b32 v1, a33
	v_fmac_f64_e32 v[30:31], v[82:83], v[128:129]
	v_accvgpr_read_b32 v33, a21
	v_add_f64 v[128:129], v[0:1], -v[20:21]
	v_mul_f64 v[22:23], v[22:23], v[166:167]
	v_accvgpr_read_b32 v32, a20
	v_fma_f64 v[130:131], v[0:1], 2.0, -v[128:129]
	v_accvgpr_read_b32 v0, a34
	v_mul_f64 v[14:15], v[14:15], v[122:123]
	v_mul_f64 v[28:29], v[28:29], v[134:135]
	v_fmac_f64_e32 v[22:23], v[70:71], v[164:165]
	v_mul_f64 v[16:17], v[16:17], v[154:155]
	v_mul_f64 v[18:19], v[18:19], v[150:151]
	;; [unrolled: 1-line block ×3, first 2 shown]
	v_accvgpr_read_b32 v1, a35
	v_mul_f64 v[2:3], v[38:39], v[98:99]
	v_mul_f64 v[24:25], v[24:25], v[118:119]
	;; [unrolled: 1-line block ×3, first 2 shown]
	v_fmac_f64_e32 v[14:15], v[78:79], v[120:121]
	v_fmac_f64_e32 v[28:29], v[80:81], v[132:133]
	v_mul_f64 v[8:9], v[8:9], v[142:143]
	v_mul_f64 v[10:11], v[10:11], v[138:139]
	v_fmac_f64_e32 v[16:17], v[64:65], v[152:153]
	v_fmac_f64_e32 v[18:19], v[66:67], v[148:149]
	;; [unrolled: 1-line block ×3, first 2 shown]
	v_add_f64 v[132:133], v[0:1], -v[22:23]
	v_add_u32_e32 v150, 0x1000, v227
	v_add_u32_e32 v154, 0x1800, v227
	;; [unrolled: 1-line block ×6, first 2 shown]
	v_fmac_f64_e32 v[2:3], v[94:95], v[96:97]
	v_fmac_f64_e32 v[6:7], v[90:91], v[104:105]
	;; [unrolled: 1-line block ×6, first 2 shown]
	v_add_f64 v[102:103], v[210:211], -v[12:13]
	v_add_f64 v[110:111], v[208:209], -v[14:15]
	v_fma_f64 v[134:135], v[0:1], 2.0, -v[132:133]
	v_add_f64 v[136:137], v[54:55], -v[16:17]
	v_add_f64 v[138:139], v[56:57], -v[18:19]
	s_waitcnt lgkmcnt(0)
	; wave barrier
	s_waitcnt lgkmcnt(0)
	ds_read_b64 v[116:117], v227
	ds_read2_b64 v[96:99], v150 offset0:48 offset1:104
	ds_read2_b64 v[16:19], v154 offset0:16 offset1:72
	;; [unrolled: 1-line block ×8, first 2 shown]
	v_accvgpr_read_b32 v199, a4
	v_add_u32_e32 v0, 0x2400, v227
	v_add_u32_e32 v155, 0x3800, v227
	v_accvgpr_read_b32 v200, a5
	v_add_u32_e32 v1, 0x1c00, v227
	v_accvgpr_read_b32 v202, a11
	v_accvgpr_read_b32 v201, a8
	;; [unrolled: 1-line block ×3, first 2 shown]
	v_add_f64 v[80:81], v[212:213], -v[24:25]
	v_add_f64 v[84:85], v[218:219], -v[26:27]
	;; [unrolled: 1-line block ×4, first 2 shown]
	ds_read_b64 v[108:109], v199
	ds_read2_b64 v[48:51], v150 offset0:160 offset1:216
	ds_read2_b64 v[44:47], v0 offset0:80 offset1:136
	ds_read2_b64 v[40:43], v155 offset1:56
	ds_read_b64 v[104:105], v200
	ds_read2_b64 v[24:27], v151 offset0:192 offset1:248
	ds_read2_b64 v[20:23], v1 offset0:112 offset1:168
	;; [unrolled: 1-line block ×3, first 2 shown]
	ds_read_b64 v[126:127], v202
	ds_read_b64 v[100:101], v201
	;; [unrolled: 1-line block ×3, first 2 shown]
	ds_read_b64 v[118:119], v227 offset:15232
	v_fma_f64 v[36:37], v[36:37], 2.0, -v[34:35]
	v_add_f64 v[2:3], v[220:221], -v[2:3]
	v_add_f64 v[6:7], v[214:215], -v[6:7]
	;; [unrolled: 1-line block ×5, first 2 shown]
	v_fma_f64 v[38:39], v[220:221], 2.0, -v[2:3]
	v_fma_f64 v[78:79], v[214:215], 2.0, -v[6:7]
	;; [unrolled: 1-line block ×13, first 2 shown]
	s_waitcnt lgkmcnt(0)
	; wave barrier
	s_waitcnt lgkmcnt(0)
	ds_write2_b64 v175, v[36:37], v[34:35] offset1:28
	ds_write2_b64 v196, v[38:39], v[2:3] offset1:28
	;; [unrolled: 1-line block ×17, first 2 shown]
	s_and_saveexec_b64 s[2:3], s[0:1]
	s_cbranch_execz .LBB0_27
; %bb.26:
	v_accvgpr_read_b32 v2, a14
	v_accvgpr_read_b32 v3, a15
	;; [unrolled: 1-line block ×3, first 2 shown]
	s_waitcnt vmcnt(0)
	v_mul_f64 v[2:3], v[2:3], v[146:147]
	v_accvgpr_read_b32 v5, a17
	v_fmac_f64_e32 v[2:3], v[4:5], v[144:145]
	v_accvgpr_read_b32 v4, a26
	v_accvgpr_read_b32 v5, a27
	v_add_f64 v[2:3], v[4:5], -v[2:3]
	v_fma_f64 v[4:5], v[4:5], 2.0, -v[2:3]
	v_add_u32_e32 v6, 0x3800, v188
	ds_write2_b64 v6, v[4:5], v[2:3] offset0:112 offset1:140
.LBB0_27:
	s_or_b64 exec, exec, s[2:3]
	v_mul_u32_u24_e32 v124, 6, v226
	v_lshlrev_b32_e32 v138, 4, v124
	s_waitcnt lgkmcnt(0)
	; wave barrier
	s_waitcnt lgkmcnt(0)
	ds_read_b64 v[120:121], v227
	ds_read_b64 v[128:129], v202
	s_waitcnt vmcnt(0)
	ds_read2_b64 v[144:147], v150 offset0:48 offset1:104
	ds_read2_b64 v[28:31], v154 offset0:16 offset1:72
	;; [unrolled: 1-line block ×5, first 2 shown]
	ds_read_b64 v[114:115], v198
	ds_read2_b64 v[84:87], v151 offset0:80 offset1:136
	ds_read2_b64 v[80:83], v154 offset0:128 offset1:184
	;; [unrolled: 1-line block ×3, first 2 shown]
	ds_read_b64 v[110:111], v199
	ds_read2_b64 v[60:63], v150 offset0:160 offset1:216
	ds_read2_b64 v[56:59], v0 offset0:80 offset1:136
	ds_read2_b64 v[52:55], v155 offset1:56
	ds_read_b64 v[106:107], v200
	ds_read2_b64 v[36:39], v151 offset0:192 offset1:248
	ds_read2_b64 v[32:35], v1 offset0:112 offset1:168
	;; [unrolled: 1-line block ×3, first 2 shown]
	ds_read_b64 v[102:103], v201
	ds_read_b64 v[122:123], v227 offset:15232
	global_load_dwordx4 v[174:177], v138, s[8:9] offset:880
	global_load_dwordx4 v[178:181], v138, s[8:9] offset:864
	;; [unrolled: 1-line block ×6, first 2 shown]
	v_accvgpr_read_b32 v172, a2
	v_accvgpr_read_b32 v173, a3
	s_mov_b32 s2, 0x37e14327
	s_mov_b32 s0, 0x36b3c0b5
	;; [unrolled: 1-line block ×20, first 2 shown]
	s_waitcnt vmcnt(5)
	v_mul_f64 v[136:137], v[92:93], v[176:177]
	s_waitcnt vmcnt(4) lgkmcnt(14)
	v_mul_f64 v[130:131], v[30:31], v[180:181]
	v_fma_f64 v[130:131], v[18:19], v[178:179], -v[130:131]
	v_mul_f64 v[132:133], v[18:19], v[180:181]
	v_mul_f64 v[18:19], v[158:159], v[176:177]
	s_waitcnt vmcnt(0)
	v_mul_f64 v[140:141], v[14:15], v[196:197]
	v_fma_f64 v[134:135], v[92:93], v[174:175], -v[18:19]
	v_mul_f64 v[18:19], v[6:7], v[196:197]
	v_fmac_f64_e32 v[140:141], v[6:7], v[194:195]
	v_mul_f64 v[6:7], v[162:163], v[192:193]
	v_fma_f64 v[142:143], v[88:89], v[190:191], -v[6:7]
	s_waitcnt lgkmcnt(12)
	v_mul_f64 v[6:7], v[84:85], v[188:189]
	v_fma_f64 v[138:139], v[14:15], v[194:195], -v[18:19]
	v_fma_f64 v[14:15], v[72:73], v[186:187], -v[6:7]
	v_mul_f64 v[6:7], v[146:147], v[184:185]
	v_fmac_f64_e32 v[132:133], v[30:31], v[178:179]
	v_mul_f64 v[18:19], v[72:73], v[188:189]
	v_fma_f64 v[30:31], v[98:99], v[182:183], -v[6:7]
	s_waitcnt lgkmcnt(11)
	v_mul_f64 v[6:7], v[80:81], v[180:181]
	v_fmac_f64_e32 v[18:19], v[84:85], v[186:187]
	v_fma_f64 v[84:85], v[68:69], v[178:179], -v[6:7]
	v_mul_f64 v[68:69], v[68:69], v[180:181]
	v_mul_f64 v[6:7], v[160:161], v[176:177]
	v_fmac_f64_e32 v[68:69], v[80:81], v[178:179]
	v_fma_f64 v[80:81], v[94:95], v[174:175], -v[6:7]
	s_waitcnt lgkmcnt(10)
	v_mul_f64 v[6:7], v[76:77], v[196:197]
	v_fma_f64 v[92:93], v[64:65], v[194:195], -v[6:7]
	v_mul_f64 v[64:65], v[64:65], v[196:197]
	v_mul_f64 v[6:7], v[164:165], v[192:193]
	v_fmac_f64_e32 v[64:65], v[76:77], v[194:195]
	v_fma_f64 v[76:77], v[90:91], v[190:191], -v[6:7]
	v_lshrrev_b16_e32 v6, 3, v172
	v_and_b32_e32 v6, 31, v6
	v_mul_f64 v[72:73], v[98:99], v[184:185]
	v_mul_lo_u16_e32 v6, 37, v6
	v_mov_b32_e32 v98, 56
	v_mul_f64 v[124:125], v[128:129], v[188:189]
	v_mul_lo_u16_sdwa v6, v6, v98 dst_sel:DWORD dst_unused:UNUSED_PAD src0_sel:BYTE_1 src1_sel:DWORD
	v_fma_f64 v[124:125], v[126:127], v[186:187], -v[124:125]
	v_mul_f64 v[126:127], v[126:127], v[188:189]
	v_sub_u16_e32 v6, v172, v6
	v_fmac_f64_e32 v[126:127], v[128:129], v[186:187]
	v_mul_f64 v[128:129], v[144:145], v[184:185]
	v_and_b32_e32 v157, 0xff, v6
	v_fma_f64 v[128:129], v[96:97], v[182:183], -v[128:129]
	v_mul_f64 v[96:97], v[96:97], v[184:185]
	v_mul_u32_u24_e32 v6, 6, v157
	v_fmac_f64_e32 v[96:97], v[144:145], v[182:183]
	v_mul_f64 v[144:145], v[88:89], v[192:193]
	v_mul_f64 v[88:89], v[94:95], v[176:177]
	;; [unrolled: 1-line block ×3, first 2 shown]
	v_lshlrev_b32_e32 v99, 4, v6
	v_fmac_f64_e32 v[136:137], v[158:159], v[174:175]
	v_fmac_f64_e32 v[144:145], v[162:163], v[190:191]
	;; [unrolled: 1-line block ×5, first 2 shown]
	global_load_dwordx4 v[146:149], v99, s[8:9] offset:880
	global_load_dwordx4 v[158:161], v99, s[8:9] offset:864
	;; [unrolled: 1-line block ×4, first 2 shown]
	v_accvgpr_read_b32 v183, a7
	v_accvgpr_read_b32 v182, a6
	s_waitcnt vmcnt(0)
	v_mul_f64 v[6:7], v[86:87], v[176:177]
	v_fma_f64 v[94:95], v[74:75], v[174:175], -v[6:7]
	v_mul_f64 v[74:75], v[74:75], v[176:177]
	s_waitcnt lgkmcnt(8)
	v_mul_f64 v[6:7], v[60:61], v[164:165]
	v_fmac_f64_e32 v[74:75], v[86:87], v[174:175]
	v_fma_f64 v[86:87], v[48:49], v[162:163], -v[6:7]
	v_mul_f64 v[48:49], v[48:49], v[164:165]
	v_mul_f64 v[6:7], v[82:83], v[160:161]
	v_fmac_f64_e32 v[48:49], v[60:61], v[162:163]
	v_fma_f64 v[60:61], v[70:71], v[158:159], -v[6:7]
	v_mul_f64 v[70:71], v[70:71], v[160:161]
	s_waitcnt lgkmcnt(7)
	v_mul_f64 v[6:7], v[56:57], v[148:149]
	v_fmac_f64_e32 v[70:71], v[82:83], v[158:159]
	v_fma_f64 v[82:83], v[44:45], v[146:147], -v[6:7]
	v_mul_f64 v[44:45], v[44:45], v[148:149]
	v_fmac_f64_e32 v[44:45], v[56:57], v[146:147]
	global_load_dwordx4 v[146:149], v99, s[8:9] offset:912
	global_load_dwordx4 v[158:161], v99, s[8:9] offset:896
	s_waitcnt vmcnt(0)
	v_mul_f64 v[6:7], v[78:79], v[160:161]
	v_fma_f64 v[56:57], v[66:67], v[158:159], -v[6:7]
	v_mul_f64 v[66:67], v[66:67], v[160:161]
	s_waitcnt lgkmcnt(6)
	v_mul_f64 v[6:7], v[52:53], v[148:149]
	v_fmac_f64_e32 v[66:67], v[78:79], v[158:159]
	v_fma_f64 v[78:79], v[40:41], v[146:147], -v[6:7]
	v_lshrrev_b16_e32 v6, 3, v173
	v_and_b32_e32 v6, 31, v6
	v_mul_lo_u16_e32 v6, 37, v6
	v_mul_lo_u16_sdwa v6, v6, v98 dst_sel:DWORD dst_unused:UNUSED_PAD src0_sel:BYTE_1 src1_sel:DWORD
	v_sub_u16_e32 v6, v173, v6
	v_and_b32_e32 v158, 0xff, v6
	v_mul_u32_u24_e32 v6, 6, v158
	v_mul_f64 v[40:41], v[40:41], v[148:149]
	v_lshlrev_b32_e32 v99, 4, v6
	v_fmac_f64_e32 v[40:41], v[52:53], v[146:147]
	global_load_dwordx4 v[146:149], v99, s[8:9] offset:880
	global_load_dwordx4 v[160:163], v99, s[8:9] offset:864
	;; [unrolled: 1-line block ×4, first 2 shown]
	s_waitcnt vmcnt(0) lgkmcnt(4)
	v_mul_f64 v[6:7], v[36:37], v[176:177]
	v_fma_f64 v[52:53], v[24:25], v[174:175], -v[6:7]
	v_mul_f64 v[24:25], v[24:25], v[176:177]
	v_mul_f64 v[6:7], v[62:63], v[166:167]
	v_fmac_f64_e32 v[24:25], v[36:37], v[174:175]
	v_fma_f64 v[36:37], v[50:51], v[164:165], -v[6:7]
	v_mul_f64 v[50:51], v[50:51], v[166:167]
	s_waitcnt lgkmcnt(3)
	v_mul_f64 v[6:7], v[32:33], v[162:163]
	v_fmac_f64_e32 v[50:51], v[62:63], v[164:165]
	v_fma_f64 v[62:63], v[20:21], v[160:161], -v[6:7]
	v_mul_f64 v[20:21], v[20:21], v[162:163]
	v_mul_f64 v[6:7], v[58:59], v[148:149]
	v_fmac_f64_e32 v[20:21], v[32:33], v[160:161]
	v_fma_f64 v[32:33], v[46:47], v[146:147], -v[6:7]
	v_mul_f64 v[46:47], v[46:47], v[148:149]
	v_fmac_f64_e32 v[46:47], v[58:59], v[146:147]
	global_load_dwordx4 v[146:149], v99, s[8:9] offset:912
	global_load_dwordx4 v[160:163], v99, s[8:9] offset:896
	s_waitcnt vmcnt(0) lgkmcnt(2)
	v_mul_f64 v[6:7], v[0:1], v[162:163]
	v_fma_f64 v[58:59], v[8:9], v[160:161], -v[6:7]
	v_lshrrev_b16_e32 v6, 3, v183
	v_mul_u32_u24_e32 v6, 0x2493, v6
	v_mul_lo_u16_sdwa v6, v6, v98 dst_sel:DWORD dst_unused:UNUSED_PAD src0_sel:WORD_1 src1_sel:DWORD
	v_mul_f64 v[8:9], v[8:9], v[162:163]
	v_sub_u16_e32 v159, v183, v6
	v_fmac_f64_e32 v[8:9], v[0:1], v[160:161]
	v_mul_f64 v[0:1], v[54:55], v[148:149]
	v_mul_u32_u24_e32 v6, 6, v159
	v_fma_f64 v[0:1], v[42:43], v[146:147], -v[0:1]
	v_mul_f64 v[42:43], v[42:43], v[148:149]
	v_lshlrev_b32_e32 v98, 4, v6
	v_fmac_f64_e32 v[42:43], v[54:55], v[146:147]
	global_load_dwordx4 v[146:149], v98, s[8:9] offset:880
	global_load_dwordx4 v[160:163], v98, s[8:9] offset:864
	global_load_dwordx4 v[164:167], v98, s[8:9] offset:848
	global_load_dwordx4 v[174:177], v98, s[8:9] offset:832
	s_waitcnt vmcnt(0)
	v_mul_f64 v[6:7], v[38:39], v[176:177]
	v_fma_f64 v[54:55], v[26:27], v[174:175], -v[6:7]
	v_mul_f64 v[26:27], v[26:27], v[176:177]
	v_mul_f64 v[6:7], v[28:29], v[166:167]
	v_fmac_f64_e32 v[26:27], v[38:39], v[174:175]
	v_fma_f64 v[38:39], v[16:17], v[164:165], -v[6:7]
	v_mul_f64 v[16:17], v[16:17], v[166:167]
	v_mul_f64 v[6:7], v[34:35], v[162:163]
	v_fmac_f64_e32 v[16:17], v[28:29], v[164:165]
	v_fma_f64 v[28:29], v[22:23], v[160:161], -v[6:7]
	v_mul_f64 v[22:23], v[22:23], v[162:163]
	v_mul_f64 v[6:7], v[4:5], v[148:149]
	v_fmac_f64_e32 v[22:23], v[34:35], v[160:161]
	v_fma_f64 v[34:35], v[12:13], v[146:147], -v[6:7]
	v_mul_f64 v[12:13], v[12:13], v[148:149]
	v_fmac_f64_e32 v[12:13], v[4:5], v[146:147]
	global_load_dwordx4 v[4:7], v98, s[8:9] offset:912
	global_load_dwordx4 v[160:163], v98, s[8:9] offset:896
	s_waitcnt lgkmcnt(0)
	; wave barrier
	s_waitcnt vmcnt(0) lgkmcnt(0)
	v_mul_f64 v[98:99], v[2:3], v[162:163]
	v_fma_f64 v[146:147], v[10:11], v[160:161], -v[98:99]
	v_mul_f64 v[10:11], v[10:11], v[162:163]
	v_fmac_f64_e32 v[10:11], v[2:3], v[160:161]
	v_mul_f64 v[2:3], v[122:123], v[6:7]
	v_mul_f64 v[6:7], v[118:119], v[6:7]
	v_fma_f64 v[148:149], v[118:119], v[4:5], -v[2:3]
	v_fmac_f64_e32 v[6:7], v[122:123], v[4:5]
	v_add_f64 v[2:3], v[124:125], v[142:143]
	v_add_f64 v[4:5], v[126:127], v[144:145]
	v_add_f64 v[98:99], v[124:125], -v[142:143]
	v_add_f64 v[122:123], v[128:129], v[138:139]
	v_add_f64 v[124:125], v[96:97], v[140:141]
	v_add_f64 v[118:119], v[126:127], -v[144:145]
	v_add_f64 v[126:127], v[128:129], -v[138:139]
	;; [unrolled: 1-line block ×3, first 2 shown]
	v_add_f64 v[128:129], v[130:131], v[134:135]
	v_add_f64 v[138:139], v[132:133], v[136:137]
	v_add_f64 v[130:131], v[134:135], -v[130:131]
	v_add_f64 v[132:133], v[136:137], -v[132:133]
	v_add_f64 v[134:135], v[122:123], v[2:3]
	v_add_f64 v[136:137], v[124:125], v[4:5]
	v_add_f64 v[140:141], v[122:123], -v[2:3]
	v_add_f64 v[142:143], v[124:125], -v[4:5]
	;; [unrolled: 1-line block ×6, first 2 shown]
	v_add_f64 v[2:3], v[130:131], v[126:127]
	v_add_f64 v[162:163], v[130:131], -v[126:127]
	v_add_f64 v[164:165], v[132:133], -v[96:97]
	v_add_f64 v[128:129], v[128:129], v[134:135]
	v_add_f64 v[134:135], v[138:139], v[136:137]
	;; [unrolled: 1-line block ×3, first 2 shown]
	v_add_f64 v[130:131], v[98:99], -v[130:131]
	v_add_f64 v[126:127], v[126:127], -v[98:99]
	;; [unrolled: 1-line block ×3, first 2 shown]
	v_add_f64 v[98:99], v[2:3], v[98:99]
	v_add_f64 v[2:3], v[116:117], v[128:129]
	;; [unrolled: 1-line block ×3, first 2 shown]
	v_mul_f64 v[116:117], v[144:145], s[2:3]
	v_mul_f64 v[4:5], v[4:5], s[2:3]
	;; [unrolled: 1-line block ×6, first 2 shown]
	v_add_f64 v[132:133], v[118:119], -v[132:133]
	v_add_f64 v[118:119], v[160:161], v[118:119]
	v_mul_f64 v[160:161], v[126:127], s[4:5]
	v_mul_f64 v[162:163], v[166:167], s[4:5]
	v_fma_f64 v[128:129], s[14:15], v[128:129], v[2:3]
	v_fma_f64 v[134:135], s[14:15], v[134:135], v[96:97]
	v_fma_f64 v[120:121], v[140:141], s[18:19], -v[120:121]
	v_fma_f64 v[136:137], v[142:143], s[18:19], -v[136:137]
	;; [unrolled: 1-line block ×3, first 2 shown]
	v_fmac_f64_e32 v[116:117], s[0:1], v[122:123]
	v_fma_f64 v[122:123], v[142:143], s[20:21], -v[4:5]
	v_fmac_f64_e32 v[4:5], s[0:1], v[124:125]
	v_fma_f64 v[124:125], v[126:127], s[4:5], -v[138:139]
	;; [unrolled: 2-line block ×4, first 2 shown]
	v_fma_f64 v[132:133], v[132:133], s[26:27], -v[162:163]
	v_add_f64 v[164:165], v[4:5], v[134:135]
	v_add_f64 v[120:121], v[120:121], v[128:129]
	;; [unrolled: 1-line block ×3, first 2 shown]
	v_fmac_f64_e32 v[138:139], s[24:25], v[98:99]
	v_fmac_f64_e32 v[124:125], s[24:25], v[98:99]
	;; [unrolled: 1-line block ×3, first 2 shown]
	v_add_f64 v[162:163], v[116:117], v[128:129]
	v_add_f64 v[140:141], v[140:141], v[128:129]
	v_fmac_f64_e32 v[144:145], s[24:25], v[118:119]
	v_fmac_f64_e32 v[160:161], s[24:25], v[98:99]
	;; [unrolled: 1-line block ×3, first 2 shown]
	v_add_f64 v[98:99], v[164:165], -v[138:139]
	v_add_f64 v[128:129], v[120:121], -v[142:143]
	v_add_f64 v[118:119], v[124:125], v[136:137]
	v_add_f64 v[130:131], v[142:143], v[120:121]
	v_add_f64 v[120:121], v[136:137], -v[124:125]
	v_add_f64 v[124:125], v[138:139], v[164:165]
	v_add_f64 v[136:137], v[14:15], v[76:77]
	;; [unrolled: 1-line block ×3, first 2 shown]
	v_add_f64 v[14:15], v[14:15], -v[76:77]
	v_add_f64 v[18:19], v[18:19], -v[90:91]
	v_add_f64 v[76:77], v[30:31], v[92:93]
	v_add_f64 v[90:91], v[72:73], v[64:65]
	v_add_f64 v[122:123], v[122:123], v[134:135]
	v_add_f64 v[30:31], v[30:31], -v[92:93]
	v_add_f64 v[64:65], v[72:73], -v[64:65]
	v_add_f64 v[72:73], v[84:85], v[80:81]
	v_add_f64 v[92:93], v[68:69], v[88:89]
	v_add_f64 v[80:81], v[80:81], -v[84:85]
	v_add_f64 v[68:69], v[88:89], -v[68:69]
	v_add_f64 v[84:85], v[76:77], v[136:137]
	v_add_f64 v[88:89], v[90:91], v[138:139]
	;; [unrolled: 1-line block ×4, first 2 shown]
	v_add_f64 v[116:117], v[122:123], -v[160:161]
	v_add_f64 v[132:133], v[140:141], -v[132:133]
	v_add_f64 v[122:123], v[160:161], v[122:123]
	v_add_f64 v[134:135], v[162:163], -v[144:145]
	v_add_f64 v[140:141], v[76:77], -v[136:137]
	;; [unrolled: 1-line block ×7, first 2 shown]
	v_add_f64 v[144:145], v[80:81], v[30:31]
	v_add_f64 v[160:161], v[68:69], v[64:65]
	v_add_f64 v[162:163], v[80:81], -v[30:31]
	v_add_f64 v[166:167], v[30:31], -v[14:15]
	v_add_f64 v[72:73], v[72:73], v[84:85]
	v_add_f64 v[84:85], v[92:93], v[88:89]
	v_add_f64 v[164:165], v[68:69], -v[64:65]
	v_add_f64 v[80:81], v[14:15], -v[80:81]
	;; [unrolled: 1-line block ×4, first 2 shown]
	v_add_f64 v[88:89], v[144:145], v[14:15]
	v_add_f64 v[18:19], v[160:161], v[18:19]
	;; [unrolled: 1-line block ×4, first 2 shown]
	v_mul_f64 v[92:93], v[136:137], s[2:3]
	v_mul_f64 v[112:113], v[138:139], s[2:3]
	;; [unrolled: 1-line block ×6, first 2 shown]
	v_fma_f64 v[84:85], s[14:15], v[84:85], v[30:31]
	v_fma_f64 v[114:115], v[140:141], s[18:19], -v[114:115]
	v_fma_f64 v[136:137], v[142:143], s[18:19], -v[136:137]
	;; [unrolled: 1-line block ×3, first 2 shown]
	v_fmac_f64_e32 v[92:93], s[0:1], v[76:77]
	v_fma_f64 v[76:77], v[142:143], s[20:21], -v[112:113]
	v_fmac_f64_e32 v[112:113], s[0:1], v[90:91]
	v_fma_f64 v[142:143], v[166:167], s[4:5], -v[138:139]
	;; [unrolled: 2-line block ×3, first 2 shown]
	v_mul_f64 v[144:145], v[164:165], s[12:13]
	v_mul_f64 v[162:163], v[64:65], s[4:5]
	v_add_f64 v[166:167], v[112:113], v[84:85]
	v_add_f64 v[112:113], v[136:137], v[84:85]
	;; [unrolled: 1-line block ×3, first 2 shown]
	v_fmac_f64_e32 v[138:139], s[24:25], v[88:89]
	v_fmac_f64_e32 v[80:81], s[24:25], v[88:89]
	v_fma_f64 v[72:73], s[14:15], v[72:73], v[14:15]
	v_fma_f64 v[164:165], v[64:65], s[4:5], -v[144:145]
	v_fmac_f64_e32 v[144:145], s[22:23], v[68:69]
	v_fma_f64 v[160:161], v[68:69], s[26:27], -v[162:163]
	v_add_f64 v[64:65], v[166:167], -v[138:139]
	v_add_f64 v[68:69], v[84:85], -v[80:81]
	v_add_f64 v[80:81], v[80:81], v[84:85]
	v_add_f64 v[84:85], v[138:139], v[166:167]
	v_add_f64 v[136:137], v[94:95], v[78:79]
	v_add_f64 v[138:139], v[74:75], v[40:41]
	v_add_f64 v[78:79], v[94:95], -v[78:79]
	v_add_f64 v[40:41], v[74:75], -v[40:41]
	v_add_f64 v[74:75], v[86:87], v[56:57]
	v_add_f64 v[94:95], v[48:49], v[66:67]
	v_add_f64 v[162:163], v[92:93], v[72:73]
	v_add_f64 v[92:93], v[114:115], v[72:73]
	v_add_f64 v[114:115], v[140:141], v[72:73]
	v_fmac_f64_e32 v[144:145], s[24:25], v[18:19]
	v_fmac_f64_e32 v[142:143], s[24:25], v[88:89]
	;; [unrolled: 1-line block ×4, first 2 shown]
	v_add_f64 v[56:57], v[86:87], -v[56:57]
	v_add_f64 v[48:49], v[48:49], -v[66:67]
	v_add_f64 v[66:67], v[60:61], v[82:83]
	v_add_f64 v[86:87], v[70:71], v[44:45]
	v_add_f64 v[60:61], v[82:83], -v[60:61]
	v_add_f64 v[44:45], v[44:45], -v[70:71]
	v_add_f64 v[70:71], v[74:75], v[136:137]
	v_add_f64 v[82:83], v[94:95], v[138:139]
	;; [unrolled: 1-line block ×4, first 2 shown]
	v_add_f64 v[90:91], v[92:93], -v[164:165]
	v_add_f64 v[72:73], v[142:143], v[112:113]
	v_add_f64 v[92:93], v[164:165], v[92:93]
	v_add_f64 v[76:77], v[112:113], -v[142:143]
	v_add_f64 v[112:113], v[114:115], -v[160:161]
	;; [unrolled: 1-line block ×9, first 2 shown]
	v_add_f64 v[144:145], v[60:61], v[56:57]
	v_add_f64 v[160:161], v[44:45], v[48:49]
	v_add_f64 v[162:163], v[60:61], -v[56:57]
	v_add_f64 v[164:165], v[44:45], -v[48:49]
	;; [unrolled: 1-line block ×3, first 2 shown]
	v_add_f64 v[70:71], v[66:67], v[70:71]
	v_add_f64 v[82:83], v[86:87], v[82:83]
	v_add_f64 v[60:61], v[78:79], -v[60:61]
	v_add_f64 v[44:45], v[40:41], -v[44:45]
	;; [unrolled: 1-line block ×3, first 2 shown]
	v_add_f64 v[78:79], v[144:145], v[78:79]
	v_add_f64 v[40:41], v[160:161], v[40:41]
	;; [unrolled: 1-line block ×4, first 2 shown]
	v_mul_f64 v[86:87], v[136:137], s[2:3]
	v_mul_f64 v[108:109], v[138:139], s[2:3]
	;; [unrolled: 1-line block ×8, first 2 shown]
	v_fma_f64 v[70:71], s[14:15], v[70:71], v[144:145]
	v_fma_f64 v[82:83], s[14:15], v[82:83], v[66:67]
	v_fma_f64 v[110:111], v[140:141], s[18:19], -v[110:111]
	v_fma_f64 v[136:137], v[142:143], s[18:19], -v[136:137]
	;; [unrolled: 1-line block ×3, first 2 shown]
	v_fmac_f64_e32 v[86:87], s[0:1], v[74:75]
	v_fma_f64 v[74:75], v[142:143], s[20:21], -v[108:109]
	v_fmac_f64_e32 v[108:109], s[0:1], v[94:95]
	v_fma_f64 v[56:57], v[56:57], s[4:5], -v[138:139]
	v_fmac_f64_e32 v[138:139], s[22:23], v[60:61]
	v_fma_f64 v[48:49], v[48:49], s[4:5], -v[160:161]
	v_fma_f64 v[60:61], v[60:61], s[26:27], -v[162:163]
	v_add_f64 v[142:143], v[86:87], v[70:71]
	v_add_f64 v[108:109], v[108:109], v[82:83]
	;; [unrolled: 1-line block ×5, first 2 shown]
	v_fmac_f64_e32 v[56:57], s[24:25], v[78:79]
	v_fmac_f64_e32 v[48:49], s[24:25], v[40:41]
	;; [unrolled: 1-line block ×4, first 2 shown]
	v_fma_f64 v[44:45], v[44:45], s[26:27], -v[164:165]
	v_add_f64 v[110:111], v[140:141], v[70:71]
	v_fmac_f64_e32 v[138:139], s[24:25], v[78:79]
	v_add_f64 v[74:75], v[82:83], -v[60:61]
	v_add_f64 v[140:141], v[86:87], -v[48:49]
	v_add_f64 v[78:79], v[56:57], v[94:95]
	v_add_f64 v[48:49], v[48:49], v[86:87]
	v_add_f64 v[86:87], v[94:95], -v[56:57]
	v_add_f64 v[94:95], v[60:61], v[82:83]
	v_add_f64 v[60:61], v[52:53], v[0:1]
	v_add_f64 v[82:83], v[24:25], v[42:43]
	v_add_f64 v[0:1], v[52:53], -v[0:1]
	v_add_f64 v[24:25], v[24:25], -v[42:43]
	v_add_f64 v[42:43], v[36:37], v[58:59]
	v_add_f64 v[52:53], v[50:51], v[8:9]
	v_fmac_f64_e32 v[160:161], s[24:25], v[40:41]
	v_fmac_f64_e32 v[44:45], s[24:25], v[40:41]
	v_add_f64 v[36:37], v[36:37], -v[58:59]
	v_add_f64 v[8:9], v[50:51], -v[8:9]
	v_add_f64 v[50:51], v[62:63], v[32:33]
	v_add_f64 v[58:59], v[20:21], v[46:47]
	v_add_f64 v[32:33], v[32:33], -v[62:63]
	v_add_f64 v[20:21], v[46:47], -v[20:21]
	v_add_f64 v[46:47], v[42:43], v[60:61]
	v_add_f64 v[62:63], v[52:53], v[82:83]
	;; [unrolled: 1-line block ×3, first 2 shown]
	v_add_f64 v[70:71], v[108:109], -v[138:139]
	v_add_f64 v[136:137], v[44:45], v[110:111]
	v_add_f64 v[44:45], v[110:111], -v[44:45]
	v_add_f64 v[56:57], v[142:143], -v[160:161]
	v_add_f64 v[108:109], v[138:139], v[108:109]
	v_add_f64 v[110:111], v[42:43], -v[60:61]
	v_add_f64 v[138:139], v[52:53], -v[82:83]
	;; [unrolled: 1-line block ×6, first 2 shown]
	v_add_f64 v[142:143], v[32:33], v[36:37]
	v_add_f64 v[160:161], v[20:21], v[8:9]
	v_add_f64 v[162:163], v[32:33], -v[36:37]
	v_add_f64 v[164:165], v[20:21], -v[8:9]
	;; [unrolled: 1-line block ×3, first 2 shown]
	v_add_f64 v[46:47], v[50:51], v[46:47]
	v_add_f64 v[50:51], v[58:59], v[62:63]
	v_add_f64 v[32:33], v[0:1], -v[32:33]
	v_add_f64 v[20:21], v[24:25], -v[20:21]
	;; [unrolled: 1-line block ×3, first 2 shown]
	v_add_f64 v[0:1], v[142:143], v[0:1]
	v_add_f64 v[24:25], v[160:161], v[24:25]
	;; [unrolled: 1-line block ×4, first 2 shown]
	v_mul_f64 v[60:61], v[60:61], s[2:3]
	v_mul_f64 v[62:63], v[82:83], s[2:3]
	;; [unrolled: 1-line block ×8, first 2 shown]
	v_fma_f64 v[46:47], s[14:15], v[46:47], v[58:59]
	v_fma_f64 v[50:51], s[14:15], v[50:51], v[104:105]
	v_fma_f64 v[82:83], v[110:111], s[18:19], -v[82:83]
	v_fma_f64 v[106:107], v[138:139], s[18:19], -v[106:107]
	;; [unrolled: 1-line block ×3, first 2 shown]
	v_fmac_f64_e32 v[60:61], s[0:1], v[42:43]
	v_fma_f64 v[42:43], v[138:139], s[20:21], -v[62:63]
	v_fmac_f64_e32 v[62:63], s[0:1], v[52:53]
	v_fma_f64 v[36:37], v[36:37], s[4:5], -v[142:143]
	;; [unrolled: 2-line block ×4, first 2 shown]
	v_fma_f64 v[20:21], v[20:21], s[26:27], -v[164:165]
	v_add_f64 v[52:53], v[60:61], v[46:47]
	v_add_f64 v[60:61], v[62:63], v[50:51]
	;; [unrolled: 1-line block ×5, first 2 shown]
	v_fmac_f64_e32 v[160:161], s[24:25], v[24:25]
	v_fmac_f64_e32 v[36:37], s[24:25], v[0:1]
	v_fmac_f64_e32 v[32:33], s[24:25], v[0:1]
	v_add_f64 v[46:47], v[110:111], v[46:47]
	v_fmac_f64_e32 v[142:143], s[24:25], v[0:1]
	v_fmac_f64_e32 v[20:21], s[24:25], v[24:25]
	v_add_f64 v[0:1], v[160:161], v[52:53]
	v_add_f64 v[162:163], v[42:43], -v[32:33]
	v_add_f64 v[164:165], v[36:37], v[82:83]
	v_add_f64 v[166:167], v[82:83], -v[36:37]
	;; [unrolled: 2-line block ×3, first 2 shown]
	v_add_f64 v[36:37], v[54:55], v[148:149]
	v_add_f64 v[42:43], v[26:27], v[6:7]
	v_add_f64 v[6:7], v[26:27], -v[6:7]
	v_add_f64 v[26:27], v[38:39], v[146:147]
	v_add_f64 v[52:53], v[16:17], v[10:11]
	v_fmac_f64_e32 v[8:9], s[24:25], v[24:25]
	v_add_f64 v[24:25], v[20:21], v[46:47]
	v_add_f64 v[20:21], v[46:47], -v[20:21]
	v_add_f64 v[46:47], v[54:55], -v[148:149]
	;; [unrolled: 1-line block ×4, first 2 shown]
	v_add_f64 v[16:17], v[28:29], v[34:35]
	v_add_f64 v[54:55], v[22:23], v[12:13]
	v_add_f64 v[28:29], v[34:35], -v[28:29]
	v_add_f64 v[12:13], v[12:13], -v[22:23]
	v_add_f64 v[22:23], v[26:27], v[36:37]
	v_add_f64 v[34:35], v[52:53], v[42:43]
	v_add_f64 v[110:111], v[60:61], -v[142:143]
	v_add_f64 v[50:51], v[62:63], -v[8:9]
	;; [unrolled: 4-line block ×3, first 2 shown]
	v_add_f64 v[36:37], v[36:37], -v[16:17]
	v_add_f64 v[42:43], v[42:43], -v[54:55]
	;; [unrolled: 1-line block ×4, first 2 shown]
	v_add_f64 v[82:83], v[28:29], v[38:39]
	v_add_f64 v[106:107], v[12:13], v[10:11]
	v_add_f64 v[138:139], v[28:29], -v[38:39]
	v_add_f64 v[38:39], v[38:39], -v[46:47]
	v_add_f64 v[16:17], v[16:17], v[22:23]
	v_add_f64 v[22:23], v[54:55], v[34:35]
	v_add_f64 v[146:147], v[12:13], -v[10:11]
	v_add_f64 v[28:29], v[46:47], -v[28:29]
	;; [unrolled: 1-line block ×4, first 2 shown]
	v_add_f64 v[34:35], v[82:83], v[46:47]
	v_add_f64 v[6:7], v[106:107], v[6:7]
	;; [unrolled: 1-line block ×4, first 2 shown]
	v_mul_f64 v[36:37], v[36:37], s[2:3]
	v_mul_f64 v[42:43], v[42:43], s[2:3]
	;; [unrolled: 1-line block ×6, first 2 shown]
	v_fma_f64 v[22:23], s[14:15], v[22:23], v[148:149]
	v_fma_f64 v[26:27], s[0:1], v[26:27], v[36:37]
	v_fma_f64 v[54:55], v[60:61], s[18:19], -v[54:55]
	v_fma_f64 v[82:83], v[62:63], s[18:19], -v[82:83]
	v_fma_f64 v[36:37], v[60:61], s[20:21], -v[36:37]
	v_fma_f64 v[60:61], v[62:63], s[20:21], -v[42:43]
	v_fmac_f64_e32 v[42:43], s[0:1], v[52:53]
	v_fma_f64 v[52:53], s[22:23], v[28:29], v[100:101]
	v_fma_f64 v[28:29], v[28:29], s[26:27], -v[106:107]
	v_add_f64 v[42:43], v[42:43], v[22:23]
	v_add_f64 v[62:63], v[82:83], v[22:23]
	;; [unrolled: 1-line block ×3, first 2 shown]
	v_fmac_f64_e32 v[28:29], s[24:25], v[34:35]
	v_add_f64 v[160:161], v[22:23], -v[28:29]
	v_add_f64 v[180:181], v[28:29], v[22:23]
	v_add_u32_e32 v29, 0x400, v227
	ds_write2_b64 v227, v[2:3], v[4:5] offset1:56
	ds_write2_b64 v227, v[126:127], v[128:129] offset0:112 offset1:168
	ds_write2_b64 v29, v[130:131], v[132:133] offset0:96 offset1:152
	;; [unrolled: 1-line block ×3, first 2 shown]
	v_accvgpr_read_b32 v130, a13
	v_add_u32_e32 v107, 0xc00, v227
	v_mul_f64 v[102:103], v[146:147], s[12:13]
	v_mul_f64 v[138:139], v[10:11], s[4:5]
	ds_write_b64 v130, v[18:19]
	ds_write2_b64 v107, v[88:89], v[90:91] offset0:120 offset1:176
	ds_write2_b64 v150, v[92:93], v[112:113] offset0:104 offset1:160
	ds_write_b64 v227, v[114:115] offset:5824
	v_lshl_add_u32 v88, v157, 3, 0
	v_lshl_add_u32 v93, v158, 3, 0
	v_fma_f64 v[16:17], s[14:15], v[16:17], v[46:47]
	v_fma_f64 v[38:39], v[38:39], s[4:5], -v[100:101]
	v_fma_f64 v[10:11], v[10:11], s[4:5], -v[102:103]
	v_fmac_f64_e32 v[102:103], s[22:23], v[12:13]
	v_fma_f64 v[12:13], v[12:13], s[26:27], -v[138:139]
	v_add_u32_e32 v89, 0x1800, v88
	v_add_u32_e32 v92, 0x1c00, v88
	;; [unrolled: 1-line block ×4, first 2 shown]
	v_add_f64 v[26:27], v[26:27], v[16:17]
	v_add_f64 v[54:55], v[54:55], v[16:17]
	;; [unrolled: 1-line block ×3, first 2 shown]
	v_fmac_f64_e32 v[102:103], s[24:25], v[6:7]
	v_fmac_f64_e32 v[10:11], s[24:25], v[6:7]
	;; [unrolled: 1-line block ×3, first 2 shown]
	ds_write2_b64 v89, v[144:145], v[40:41] offset0:16 offset1:72
	ds_write2_b64 v89, v[136:137], v[140:141] offset0:128 offset1:184
	;; [unrolled: 1-line block ×3, first 2 shown]
	ds_write_b64 v88, v[56:57] offset:8960
	ds_write2_b64 v101, v[58:59], v[0:1] offset0:152 offset1:208
	ds_write2_b64 v106, v[24:25], v[50:51] offset0:8 offset1:64
	;; [unrolled: 1-line block ×3, first 2 shown]
	ds_write_b64 v93, v[32:33] offset:12096
	v_lshl_add_u32 v25, v159, 3, 0
	v_fmac_f64_e32 v[52:53], s[24:25], v[34:35]
	v_fmac_f64_e32 v[38:39], s[24:25], v[34:35]
	v_add_f64 v[6:7], v[102:103], v[26:27]
	v_add_f64 v[34:35], v[12:13], v[16:17]
	v_add_f64 v[36:37], v[54:55], -v[10:11]
	v_add_f64 v[10:11], v[10:11], v[54:55]
	v_add_f64 v[12:13], v[16:17], -v[12:13]
	v_add_f64 v[16:17], v[26:27], -v[102:103]
	v_add_u32_e32 v112, 0x3000, v25
	v_add_u32_e32 v113, 0x3800, v25
	v_accvgpr_read_b32 v128, a9
	v_add_u32_e32 v24, 0x1400, v227
	v_add_u32_e32 v28, 0x2c00, v227
	v_add_f64 v[146:147], v[42:43], -v[52:53]
	v_add_f64 v[176:177], v[38:39], v[62:63]
	v_add_f64 v[178:179], v[62:63], -v[38:39]
	v_add_f64 v[26:27], v[52:53], v[42:43]
	ds_write2_b64 v112, v[46:47], v[6:7] offset0:32 offset1:88
	ds_write2_b64 v112, v[34:35], v[36:37] offset0:144 offset1:200
	ds_write2_b64 v113, v[10:11], v[12:13] offset1:56
	ds_write_b64 v25, v[16:17] offset:15232
	s_waitcnt lgkmcnt(0)
	; wave barrier
	s_waitcnt lgkmcnt(0)
	ds_read2st64_b64 v[0:3], v227 offset1:7
	ds_read_b64 v[134:135], v128
	ds_read2_b64 v[8:11], v24 offset0:88 offset1:144
	ds_read2_b64 v[4:7], v152 offset0:152 offset1:208
	;; [unrolled: 1-line block ×3, first 2 shown]
	ds_read_b64 v[138:139], v198
	ds_read2_b64 v[16:19], v154 offset0:72 offset1:128
	ds_read2_b64 v[20:23], v156 offset0:88 offset1:144
	ds_read_b64 v[126:127], v199
	ds_read2_b64 v[36:39], v107 offset0:120 offset1:176
	ds_read2_b64 v[32:35], v153 offset0:8 offset1:64
	ds_read_b64 v[114:115], v200
	ds_read2_b64 v[40:43], v154 offset0:184 offset1:240
	v_add_u32_e32 v100, 0x3400, v227
	ds_read2_b64 v[44:47], v100 offset0:72 offset1:128
	ds_read_b64 v[102:103], v201
	ds_read2_b64 v[52:55], v150 offset0:104 offset1:160
	ds_read2_b64 v[48:51], v153 offset0:120 offset1:176
	ds_read_b64 v[90:91], v202
	ds_read2_b64 v[56:59], v152 offset0:40 offset1:96
	ds_read2_b64 v[60:63], v155 offset0:56 offset1:112
	v_accvgpr_read_b32 v129, a12
	ds_read_b64 v[82:83], v129
	s_waitcnt lgkmcnt(0)
	; wave barrier
	s_waitcnt lgkmcnt(0)
	ds_write2_b64 v227, v[96:97], v[98:99] offset1:56
	ds_write2_b64 v227, v[116:117], v[118:119] offset0:112 offset1:168
	ds_write2_b64 v29, v[120:121], v[122:123] offset0:96 offset1:152
	;; [unrolled: 1-line block ×3, first 2 shown]
	ds_write_b64 v130, v[64:65]
	ds_write2_b64 v107, v[68:69], v[72:73] offset0:120 offset1:176
	ds_write2_b64 v150, v[76:77], v[80:81] offset0:104 offset1:160
	ds_write_b64 v227, v[84:85] offset:5824
	ds_write2_b64 v89, v[66:67], v[70:71] offset0:16 offset1:72
	ds_write2_b64 v89, v[74:75], v[78:79] offset0:128 offset1:184
	ds_write2_b64 v92, v[86:87], v[94:95] offset0:112 offset1:168
	ds_write_b64 v88, v[108:109] offset:8960
	ds_write2_b64 v101, v[104:105], v[110:111] offset0:152 offset1:208
	;; [unrolled: 4-line block ×3, first 2 shown]
	ds_write2_b64 v112, v[160:161], v[176:177] offset0:144 offset1:200
	ds_write2_b64 v113, v[178:179], v[180:181] offset1:56
	ds_write_b64 v25, v[26:27] offset:15232
	s_waitcnt lgkmcnt(0)
	; wave barrier
	s_waitcnt lgkmcnt(0)
	s_mov_b64 s[0:1], exec
	s_and_b64 s[0:1], s[0:1], vcc
	v_accvgpr_read_b32 v25, a0
	v_accvgpr_read_b32 v26, a10
	s_mov_b64 exec, s[0:1]
	s_cbranch_execz .LBB0_29
; %bb.28:
	v_lshlrev_b32_e32 v130, 2, v26
	v_mov_b32_e32 v131, 0
	v_lshl_add_u64 v[26:27], v[130:131], 4, s[8:9]
	s_mov_b64 s[14:15], 0x1840
	s_movk_i32 s18, 0x1000
	v_lshl_add_u64 v[30:31], v[26:27], 0, s[14:15]
	v_add_co_u32_e32 v26, vcc, s18, v26
	v_mul_lo_u32 v81, s11, v170
	s_nop 0
	v_addc_co_u32_e32 v27, vcc, 0, v27, vcc
	global_load_dwordx4 v[64:67], v[30:31], off offset:16
	global_load_dwordx4 v[72:75], v[26:27], off offset:2112
	;; [unrolled: 1-line block ×4, first 2 shown]
	v_mul_lo_u32 v85, s10, v171
	v_mad_u64_u32 v[136:137], s[0:1], s10, v170, 0
	v_lshlrev_b32_e32 v80, 2, v182
	v_add3_u32 v137, v137, v85, v81
	v_mov_b32_e32 v81, v131
	v_add_u32_e32 v132, 0x2000, v227
	v_add_u32_e32 v88, 0x3800, v227
	v_lshl_add_u64 v[80:81], v[80:81], 4, s[8:9]
	v_lshlrev_b32_e32 v118, 2, v25
	ds_read2_b64 v[24:27], v24 offset0:88 offset1:144
	ds_read2_b64 v[28:31], v28 offset0:104 offset1:160
	ds_read_b64 v[86:87], v129
	ds_read_b64 v[92:93], v202
	ds_read_b64 v[140:141], v128
	ds_read2_b64 v[96:99], v132 offset0:40 offset1:96
	ds_read2_b64 v[108:111], v88 offset0:56 offset1:112
	v_lshl_add_u64 v[88:89], v[80:81], 0, s[14:15]
	v_add_co_u32_e32 v80, vcc, s18, v80
	s_mov_b32 s2, 0x134454ff
	s_nop 0
	v_addc_co_u32_e32 v81, vcc, 0, v81, vcc
	global_load_dwordx4 v[120:123], v[80:81], off offset:2112
	global_load_dwordx4 v[142:145], v[88:89], off offset:48
	;; [unrolled: 1-line block ×4, first 2 shown]
	s_mov_b32 s3, 0xbfee6f0e
	s_mov_b32 s0, 0x4755a5e
	;; [unrolled: 1-line block ×9, first 2 shown]
	v_lshlrev_b32_e32 v84, 2, v183
	v_mov_b32_e32 v85, v131
	v_add_u32_e32 v119, 0x2800, v227
	v_lshlrev_b32_e32 v106, 2, v172
	v_lshlrev_b32_e32 v94, 2, v173
	v_add_u32_e32 v133, 0x1800, v227
	v_mov_b32_e32 v95, v131
	v_lshl_add_u64 v[94:95], v[94:95], 4, s[8:9]
	v_lshlrev_b32_e32 v130, 2, v226
	s_waitcnt vmcnt(7) lgkmcnt(1)
	v_mul_f64 v[88:89], v[64:65], v[98:99]
	s_waitcnt vmcnt(6)
	v_mul_f64 v[104:105], v[72:73], v[24:25]
	s_waitcnt vmcnt(5)
	v_mul_f64 v[112:113], v[68:69], v[28:29]
	s_waitcnt vmcnt(4) lgkmcnt(0)
	v_mul_f64 v[116:117], v[76:77], v[110:111]
	v_mul_f64 v[98:99], v[66:67], v[98:99]
	;; [unrolled: 1-line block ×3, first 2 shown]
	v_fmac_f64_e32 v[104:105], v[8:9], v[74:75]
	v_fmac_f64_e32 v[116:117], v[62:63], v[78:79]
	v_mul_f64 v[24:25], v[74:75], v[24:25]
	v_mul_f64 v[80:81], v[78:79], v[110:111]
	v_fmac_f64_e32 v[88:89], v[58:59], v[66:67]
	v_fmac_f64_e32 v[112:113], v[12:13], v[70:71]
	v_fma_f64 v[58:59], v[58:59], v[64:65], -v[98:99]
	v_fma_f64 v[12:13], v[12:13], v[68:69], -v[28:29]
	v_add_f64 v[64:65], v[104:105], v[116:117]
	v_fma_f64 v[8:9], v[8:9], v[72:73], -v[24:25]
	v_fma_f64 v[24:25], v[62:63], v[76:77], -v[80:81]
	v_add_f64 v[28:29], v[88:89], -v[104:105]
	v_add_f64 v[62:63], v[112:113], -v[116:117]
	;; [unrolled: 1-line block ×5, first 2 shown]
	v_fma_f64 v[72:73], -0.5, v[64:65], v[86:87]
	v_add_f64 v[66:67], v[8:9], -v[24:25]
	v_add_f64 v[28:29], v[28:29], v[62:63]
	v_add_f64 v[62:63], v[68:69], v[74:75]
	v_fma_f64 v[68:69], s[2:3], v[70:71], v[72:73]
	v_fmac_f64_e32 v[72:73], s[10:11], v[70:71]
	v_add_f64 v[76:77], v[88:89], v[112:113]
	v_fmac_f64_e32 v[68:69], s[0:1], v[66:67]
	v_fmac_f64_e32 v[72:73], s[12:13], v[66:67]
	v_fma_f64 v[76:77], -0.5, v[76:77], v[86:87]
	v_fmac_f64_e32 v[68:69], s[4:5], v[28:29]
	v_fmac_f64_e32 v[72:73], s[4:5], v[28:29]
	v_add_f64 v[28:29], v[104:105], v[86:87]
	v_fma_f64 v[64:65], s[10:11], v[66:67], v[76:77]
	v_fmac_f64_e32 v[76:77], s[2:3], v[66:67]
	v_add_f64 v[28:29], v[88:89], v[28:29]
	v_fmac_f64_e32 v[64:65], s[0:1], v[70:71]
	v_fmac_f64_e32 v[76:77], s[12:13], v[70:71]
	v_add_f64 v[28:29], v[112:113], v[28:29]
	v_fmac_f64_e32 v[64:65], s[4:5], v[62:63]
	v_fmac_f64_e32 v[76:77], s[4:5], v[62:63]
	v_add_f64 v[80:81], v[116:117], v[28:29]
	v_add_f64 v[28:29], v[58:59], -v[8:9]
	v_add_f64 v[62:63], v[12:13], -v[24:25]
	v_add_f64 v[28:29], v[28:29], v[62:63]
	v_add_f64 v[62:63], v[8:9], v[24:25]
	v_fma_f64 v[70:71], -0.5, v[62:63], v[82:83]
	v_add_f64 v[78:79], v[88:89], -v[112:113]
	v_fma_f64 v[66:67], s[10:11], v[78:79], v[70:71]
	v_add_f64 v[86:87], v[104:105], -v[116:117]
	v_fmac_f64_e32 v[70:71], s[2:3], v[78:79]
	v_fmac_f64_e32 v[66:67], s[12:13], v[86:87]
	;; [unrolled: 1-line block ×5, first 2 shown]
	v_add_f64 v[28:29], v[8:9], -v[58:59]
	v_add_f64 v[62:63], v[24:25], -v[12:13]
	v_add_f64 v[28:29], v[28:29], v[62:63]
	v_add_f64 v[62:63], v[58:59], v[12:13]
	;; [unrolled: 1-line block ×3, first 2 shown]
	v_fma_f64 v[74:75], -0.5, v[62:63], v[82:83]
	v_add_f64 v[8:9], v[58:59], v[8:9]
	v_fma_f64 v[62:63], s[2:3], v[86:87], v[74:75]
	v_fmac_f64_e32 v[74:75], s[10:11], v[86:87]
	v_add_f64 v[8:9], v[8:9], v[12:13]
	v_fmac_f64_e32 v[62:63], s[12:13], v[78:79]
	v_fmac_f64_e32 v[74:75], s[0:1], v[78:79]
	v_add_f64 v[78:79], v[8:9], v[24:25]
	v_add_u32_e32 v8, 0x1000, v227
	ds_read2_b64 v[110:113], v8 offset0:104 offset1:160
	v_lshl_add_u64 v[8:9], v[84:85], 4, s[8:9]
	v_lshl_add_u64 v[12:13], v[8:9], 0, s[14:15]
	v_add_co_u32_e32 v8, vcc, s18, v8
	global_load_dwordx4 v[154:157], v[12:13], off offset:32
	global_load_dwordx4 v[158:161], v[12:13], off offset:16
	v_addc_co_u32_e32 v9, vcc, 0, v9, vcc
	global_load_dwordx4 v[162:165], v[8:9], off offset:2112
	global_load_dwordx4 v[174:177], v[12:13], off offset:48
	ds_read2_b64 v[170:173], v119 offset0:120 offset1:176
	v_fmac_f64_e32 v[62:63], s[4:5], v[28:29]
	v_fmac_f64_e32 v[74:75], s[4:5], v[28:29]
	s_waitcnt vmcnt(4)
	v_mul_f64 v[8:9], v[150:151], v[96:97]
	s_waitcnt lgkmcnt(1)
	v_mul_f64 v[24:25], v[120:121], v[112:113]
	s_waitcnt lgkmcnt(0)
	v_mul_f64 v[28:29], v[146:147], v[172:173]
	v_mul_f64 v[86:87], v[142:143], v[108:109]
	v_fmac_f64_e32 v[8:9], v[56:57], v[152:153]
	v_fmac_f64_e32 v[24:25], v[54:55], v[122:123]
	;; [unrolled: 1-line block ×4, first 2 shown]
	v_add_f64 v[12:13], v[8:9], -v[24:25]
	v_add_f64 v[58:59], v[28:29], -v[86:87]
	v_add_f64 v[12:13], v[12:13], v[58:59]
	v_mul_f64 v[58:59], v[122:123], v[112:113]
	v_fma_f64 v[98:99], v[54:55], v[120:121], -v[58:59]
	v_add_f64 v[58:59], v[24:25], v[86:87]
	v_fma_f64 v[84:85], -0.5, v[58:59], v[92:93]
	v_mul_f64 v[58:59], v[152:153], v[96:97]
	v_fma_f64 v[96:97], v[56:57], v[150:151], -v[58:59]
	v_mul_f64 v[56:57], v[148:149], v[172:173]
	v_mul_f64 v[54:55], v[144:145], v[108:109]
	v_fma_f64 v[50:51], v[50:51], v[146:147], -v[56:57]
	v_fma_f64 v[104:105], v[60:61], v[142:143], -v[54:55]
	v_add_f64 v[58:59], v[96:97], -v[50:51]
	v_add_f64 v[54:55], v[98:99], -v[104:105]
	v_fma_f64 v[60:61], s[2:3], v[58:59], v[84:85]
	v_fmac_f64_e32 v[84:85], s[10:11], v[58:59]
	v_fmac_f64_e32 v[60:61], s[0:1], v[54:55]
	;; [unrolled: 1-line block ×5, first 2 shown]
	v_add_f64 v[12:13], v[24:25], -v[8:9]
	v_add_f64 v[56:57], v[86:87], -v[28:29]
	v_add_f64 v[12:13], v[12:13], v[56:57]
	v_add_f64 v[56:57], v[8:9], v[28:29]
	v_fma_f64 v[88:89], -0.5, v[56:57], v[92:93]
	v_fma_f64 v[56:57], s[10:11], v[54:55], v[88:89]
	v_fmac_f64_e32 v[88:89], s[2:3], v[54:55]
	v_fmac_f64_e32 v[56:57], s[0:1], v[58:59]
	;; [unrolled: 1-line block ×5, first 2 shown]
	v_add_f64 v[12:13], v[24:25], v[92:93]
	v_add_f64 v[12:13], v[8:9], v[12:13]
	;; [unrolled: 1-line block ×4, first 2 shown]
	v_add_f64 v[12:13], v[96:97], -v[98:99]
	v_add_f64 v[54:55], v[50:51], -v[104:105]
	v_add_f64 v[12:13], v[12:13], v[54:55]
	v_add_f64 v[54:55], v[98:99], v[104:105]
	v_fma_f64 v[82:83], -0.5, v[54:55], v[90:91]
	v_add_f64 v[8:9], v[8:9], -v[28:29]
	v_fma_f64 v[58:59], s[10:11], v[8:9], v[82:83]
	v_add_f64 v[24:25], v[24:25], -v[86:87]
	v_fmac_f64_e32 v[82:83], s[2:3], v[8:9]
	v_fmac_f64_e32 v[58:59], s[12:13], v[24:25]
	;; [unrolled: 1-line block ×5, first 2 shown]
	v_add_f64 v[12:13], v[98:99], -v[96:97]
	v_add_f64 v[28:29], v[104:105], -v[50:51]
	v_add_f64 v[12:13], v[12:13], v[28:29]
	v_add_f64 v[28:29], v[96:97], v[50:51]
	v_fma_f64 v[86:87], -0.5, v[28:29], v[90:91]
	ds_read2_b64 v[120:123], v133 offset0:184 offset1:240
	ds_read2_b64 v[142:145], v100 offset0:72 offset1:128
	v_fma_f64 v[54:55], s[2:3], v[24:25], v[86:87]
	v_fmac_f64_e32 v[86:87], s[10:11], v[24:25]
	v_fmac_f64_e32 v[54:55], s[12:13], v[8:9]
	;; [unrolled: 1-line block ×3, first 2 shown]
	v_add_f64 v[8:9], v[90:91], v[98:99]
	v_add_f64 v[8:9], v[96:97], v[8:9]
	;; [unrolled: 1-line block ×3, first 2 shown]
	v_fmac_f64_e32 v[54:55], s[4:5], v[12:13]
	v_fmac_f64_e32 v[86:87], s[4:5], v[12:13]
	v_add_f64 v[90:91], v[8:9], v[104:105]
	s_waitcnt vmcnt(2) lgkmcnt(1)
	v_mul_f64 v[8:9], v[158:159], v[122:123]
	s_waitcnt vmcnt(1)
	v_mul_f64 v[12:13], v[162:163], v[110:111]
	v_mul_f64 v[28:29], v[154:155], v[170:171]
	s_waitcnt vmcnt(0) lgkmcnt(0)
	v_mul_f64 v[98:99], v[174:175], v[144:145]
	v_fmac_f64_e32 v[8:9], v[42:43], v[160:161]
	v_fmac_f64_e32 v[12:13], v[52:53], v[164:165]
	;; [unrolled: 1-line block ×4, first 2 shown]
	v_lshl_add_u64 v[96:97], v[94:95], 0, s[14:15]
	v_add_co_u32_e32 v94, vcc, s18, v94
	v_add_f64 v[24:25], v[8:9], -v[12:13]
	v_add_f64 v[50:51], v[28:29], -v[98:99]
	v_addc_co_u32_e32 v95, vcc, 0, v95, vcc
	global_load_dwordx4 v[146:149], v[96:97], off offset:32
	global_load_dwordx4 v[150:153], v[96:97], off offset:16
	;; [unrolled: 1-line block ×3, first 2 shown]
	v_add_f64 v[24:25], v[24:25], v[50:51]
	v_mul_f64 v[50:51], v[164:165], v[110:111]
	global_load_dwordx4 v[108:111], v[96:97], off offset:48
	ds_read_b64 v[94:95], v201
	ds_read_b64 v[128:129], v200
	v_fma_f64 v[112:113], v[52:53], v[162:163], -v[50:51]
	v_mul_f64 v[50:51], v[176:177], v[144:145]
	v_fma_f64 v[116:117], v[46:47], v[174:175], -v[50:51]
	v_add_f64 v[50:51], v[12:13], v[98:99]
	s_waitcnt lgkmcnt(1)
	v_fma_f64 v[96:97], -0.5, v[50:51], v[94:95]
	v_mul_f64 v[50:51], v[160:161], v[122:123]
	v_fma_f64 v[42:43], v[42:43], v[158:159], -v[50:51]
	v_mul_f64 v[50:51], v[156:157], v[170:171]
	v_fma_f64 v[122:123], v[48:49], v[154:155], -v[50:51]
	v_add_f64 v[50:51], v[42:43], -v[122:123]
	v_add_f64 v[46:47], v[112:113], -v[116:117]
	v_fma_f64 v[52:53], s[2:3], v[50:51], v[96:97]
	v_fmac_f64_e32 v[96:97], s[10:11], v[50:51]
	v_fmac_f64_e32 v[52:53], s[0:1], v[46:47]
	;; [unrolled: 1-line block ×5, first 2 shown]
	v_add_f64 v[24:25], v[12:13], -v[8:9]
	v_add_f64 v[48:49], v[98:99], -v[28:29]
	v_add_f64 v[24:25], v[24:25], v[48:49]
	v_add_f64 v[48:49], v[8:9], v[28:29]
	v_fma_f64 v[100:101], -0.5, v[48:49], v[94:95]
	v_fma_f64 v[48:49], s[10:11], v[46:47], v[100:101]
	v_fmac_f64_e32 v[100:101], s[2:3], v[46:47]
	v_fmac_f64_e32 v[48:49], s[0:1], v[50:51]
	;; [unrolled: 1-line block ×5, first 2 shown]
	v_add_f64 v[24:25], v[12:13], v[94:95]
	v_add_f64 v[24:25], v[8:9], v[24:25]
	;; [unrolled: 1-line block ×4, first 2 shown]
	v_add_f64 v[24:25], v[42:43], -v[112:113]
	v_add_f64 v[46:47], v[122:123], -v[116:117]
	v_add_f64 v[24:25], v[24:25], v[46:47]
	v_add_f64 v[46:47], v[112:113], v[116:117]
	v_fma_f64 v[94:95], -0.5, v[46:47], v[102:103]
	v_add_f64 v[8:9], v[8:9], -v[28:29]
	v_fma_f64 v[50:51], s[10:11], v[8:9], v[94:95]
	v_add_f64 v[12:13], v[12:13], -v[98:99]
	v_fmac_f64_e32 v[94:95], s[2:3], v[8:9]
	v_fmac_f64_e32 v[50:51], s[12:13], v[12:13]
	;; [unrolled: 1-line block ×5, first 2 shown]
	v_add_f64 v[24:25], v[112:113], -v[42:43]
	v_add_f64 v[28:29], v[116:117], -v[122:123]
	v_add_f64 v[24:25], v[24:25], v[28:29]
	v_add_f64 v[28:29], v[42:43], v[122:123]
	v_fma_f64 v[98:99], -0.5, v[28:29], v[102:103]
	v_fma_f64 v[46:47], s[2:3], v[12:13], v[98:99]
	v_fmac_f64_e32 v[98:99], s[10:11], v[12:13]
	v_fmac_f64_e32 v[46:47], s[12:13], v[8:9]
	;; [unrolled: 1-line block ×3, first 2 shown]
	v_add_f64 v[8:9], v[102:103], v[112:113]
	v_add_f64 v[8:9], v[42:43], v[8:9]
	;; [unrolled: 1-line block ×3, first 2 shown]
	ds_read2_b64 v[122:125], v107 offset0:120 offset1:176
	v_mov_b32_e32 v107, v131
	v_lshl_add_u64 v[12:13], v[106:107], 4, s[8:9]
	v_fmac_f64_e32 v[46:47], s[4:5], v[24:25]
	v_fmac_f64_e32 v[98:99], s[4:5], v[24:25]
	v_lshl_add_u64 v[24:25], v[12:13], 0, s[14:15]
	v_add_co_u32_e32 v12, vcc, s18, v12
	global_load_dwordx4 v[154:157], v[24:25], off offset:32
	global_load_dwordx4 v[158:161], v[24:25], off offset:16
	v_addc_co_u32_e32 v13, vcc, 0, v13, vcc
	global_load_dwordx4 v[162:165], v[12:13], off offset:2112
	global_load_dwordx4 v[174:177], v[24:25], off offset:48
	ds_read2_b64 v[170:173], v119 offset0:8 offset1:64
	v_add_f64 v[102:103], v[8:9], v[116:117]
	v_mov_b32_e32 v119, v131
	s_waitcnt vmcnt(6)
	v_mul_f64 v[8:9], v[150:151], v[120:121]
	s_waitcnt vmcnt(5) lgkmcnt(1)
	v_mul_f64 v[12:13], v[178:179], v[124:125]
	s_waitcnt lgkmcnt(0)
	v_mul_f64 v[28:29], v[146:147], v[172:173]
	v_fmac_f64_e32 v[8:9], v[40:41], v[152:153]
	s_waitcnt vmcnt(4)
	v_mul_f64 v[144:145], v[108:109], v[142:143]
	v_fmac_f64_e32 v[12:13], v[38:39], v[180:181]
	v_fmac_f64_e32 v[28:29], v[34:35], v[148:149]
	;; [unrolled: 1-line block ×3, first 2 shown]
	v_add_f64 v[24:25], v[8:9], -v[12:13]
	v_add_f64 v[42:43], v[28:29], -v[144:145]
	v_add_f64 v[24:25], v[24:25], v[42:43]
	v_mul_f64 v[42:43], v[180:181], v[124:125]
	v_fma_f64 v[124:125], v[38:39], v[178:179], -v[42:43]
	v_mul_f64 v[38:39], v[110:111], v[142:143]
	v_add_f64 v[42:43], v[12:13], v[144:145]
	v_fma_f64 v[166:167], v[44:45], v[108:109], -v[38:39]
	v_fma_f64 v[108:109], -0.5, v[42:43], v[128:129]
	v_mul_f64 v[42:43], v[152:153], v[120:121]
	v_fma_f64 v[120:121], v[40:41], v[150:151], -v[42:43]
	v_mul_f64 v[40:41], v[148:149], v[172:173]
	v_fma_f64 v[34:35], v[34:35], v[146:147], -v[40:41]
	v_add_f64 v[42:43], v[120:121], -v[34:35]
	v_add_f64 v[38:39], v[124:125], -v[166:167]
	v_fma_f64 v[44:45], s[2:3], v[42:43], v[108:109]
	v_fmac_f64_e32 v[108:109], s[10:11], v[42:43]
	v_fmac_f64_e32 v[44:45], s[0:1], v[38:39]
	;; [unrolled: 1-line block ×5, first 2 shown]
	v_add_f64 v[24:25], v[12:13], -v[8:9]
	v_add_f64 v[40:41], v[144:145], -v[28:29]
	v_add_f64 v[24:25], v[24:25], v[40:41]
	v_add_f64 v[40:41], v[8:9], v[28:29]
	v_fma_f64 v[112:113], -0.5, v[40:41], v[128:129]
	v_fma_f64 v[40:41], s[10:11], v[38:39], v[112:113]
	v_fmac_f64_e32 v[112:113], s[2:3], v[38:39]
	v_fmac_f64_e32 v[40:41], s[0:1], v[42:43]
	;; [unrolled: 1-line block ×5, first 2 shown]
	v_add_f64 v[24:25], v[12:13], v[128:129]
	v_add_f64 v[24:25], v[8:9], v[24:25]
	;; [unrolled: 1-line block ×4, first 2 shown]
	v_add_f64 v[24:25], v[120:121], -v[124:125]
	v_add_f64 v[38:39], v[34:35], -v[166:167]
	v_add_f64 v[24:25], v[24:25], v[38:39]
	v_add_f64 v[38:39], v[124:125], v[166:167]
	v_fma_f64 v[106:107], -0.5, v[38:39], v[114:115]
	v_add_f64 v[8:9], v[8:9], -v[28:29]
	v_fma_f64 v[42:43], s[10:11], v[8:9], v[106:107]
	v_add_f64 v[12:13], v[12:13], -v[144:145]
	v_fmac_f64_e32 v[106:107], s[2:3], v[8:9]
	v_fmac_f64_e32 v[42:43], s[12:13], v[12:13]
	v_fmac_f64_e32 v[106:107], s[0:1], v[12:13]
	v_fmac_f64_e32 v[42:43], s[4:5], v[24:25]
	v_fmac_f64_e32 v[106:107], s[4:5], v[24:25]
	v_add_f64 v[24:25], v[124:125], -v[120:121]
	v_add_f64 v[28:29], v[166:167], -v[34:35]
	v_add_f64 v[24:25], v[24:25], v[28:29]
	v_add_f64 v[28:29], v[120:121], v[34:35]
	v_fma_f64 v[110:111], -0.5, v[28:29], v[114:115]
	v_fma_f64 v[38:39], s[2:3], v[12:13], v[110:111]
	v_fmac_f64_e32 v[110:111], s[10:11], v[12:13]
	v_fmac_f64_e32 v[38:39], s[12:13], v[8:9]
	;; [unrolled: 1-line block ×5, first 2 shown]
	v_add_u32_e32 v24, 0x3000, v227
	ds_read2_b64 v[142:145], v133 offset0:72 offset1:128
	ds_read2_b64 v[146:149], v24 offset0:88 offset1:144
	v_add_f64 v[8:9], v[114:115], v[124:125]
	v_add_f64 v[8:9], v[120:121], v[8:9]
	v_add_f64 v[8:9], v[8:9], v[34:35]
	v_add_f64 v[114:115], v[8:9], v[166:167]
	s_waitcnt vmcnt(2) lgkmcnt(1)
	v_mul_f64 v[8:9], v[158:159], v[144:145]
	s_waitcnt vmcnt(1)
	v_mul_f64 v[12:13], v[162:163], v[122:123]
	v_mul_f64 v[28:29], v[154:155], v[170:171]
	s_waitcnt vmcnt(0) lgkmcnt(0)
	v_mul_f64 v[166:167], v[174:175], v[148:149]
	v_fmac_f64_e32 v[8:9], v[18:19], v[160:161]
	v_fmac_f64_e32 v[12:13], v[36:37], v[164:165]
	;; [unrolled: 1-line block ×4, first 2 shown]
	v_lshl_add_u64 v[118:119], v[118:119], 4, s[8:9]
	v_add_f64 v[24:25], v[8:9], -v[12:13]
	v_add_f64 v[34:35], v[28:29], -v[166:167]
	v_lshl_add_u64 v[120:121], v[118:119], 0, s[14:15]
	v_add_co_u32_e32 v118, vcc, s18, v118
	v_add_f64 v[24:25], v[24:25], v[34:35]
	s_nop 0
	v_addc_co_u32_e32 v119, vcc, 0, v119, vcc
	v_mul_f64 v[34:35], v[164:165], v[122:123]
	ds_read_b64 v[186:187], v199
	global_load_dwordx4 v[150:153], v[120:121], off offset:32
	global_load_dwordx4 v[178:181], v[120:121], off offset:16
	;; [unrolled: 1-line block ×3, first 2 shown]
	v_fma_f64 v[36:37], v[36:37], v[162:163], -v[34:35]
	global_load_dwordx4 v[162:165], v[120:121], off offset:48
	v_mul_f64 v[34:35], v[176:177], v[148:149]
	v_fma_f64 v[148:149], v[22:23], v[174:175], -v[34:35]
	v_add_f64 v[34:35], v[12:13], v[166:167]
	s_waitcnt lgkmcnt(0)
	v_fma_f64 v[120:121], -0.5, v[34:35], v[186:187]
	v_mul_f64 v[34:35], v[160:161], v[144:145]
	v_fma_f64 v[18:19], v[18:19], v[158:159], -v[34:35]
	v_mul_f64 v[34:35], v[156:157], v[170:171]
	v_fma_f64 v[144:145], v[32:33], v[154:155], -v[34:35]
	v_add_f64 v[32:33], v[18:19], -v[144:145]
	v_add_f64 v[22:23], v[36:37], -v[148:149]
	v_fma_f64 v[34:35], s[2:3], v[32:33], v[120:121]
	v_fmac_f64_e32 v[120:121], s[10:11], v[32:33]
	v_fmac_f64_e32 v[34:35], s[0:1], v[22:23]
	;; [unrolled: 1-line block ×5, first 2 shown]
	v_add_f64 v[24:25], v[12:13], -v[8:9]
	v_add_f64 v[118:119], v[166:167], -v[28:29]
	v_add_f64 v[118:119], v[24:25], v[118:119]
	v_add_f64 v[24:25], v[8:9], v[28:29]
	v_fma_f64 v[124:125], -0.5, v[24:25], v[186:187]
	v_fma_f64 v[24:25], s[10:11], v[22:23], v[124:125]
	v_fmac_f64_e32 v[124:125], s[2:3], v[22:23]
	v_add_f64 v[22:23], v[12:13], v[186:187]
	v_add_f64 v[22:23], v[8:9], v[22:23]
	;; [unrolled: 1-line block ×3, first 2 shown]
	v_fmac_f64_e32 v[24:25], s[0:1], v[32:33]
	v_fmac_f64_e32 v[124:125], s[12:13], v[32:33]
	v_add_f64 v[128:129], v[166:167], v[22:23]
	v_add_f64 v[22:23], v[18:19], -v[36:37]
	v_add_f64 v[32:33], v[144:145], -v[148:149]
	v_add_f64 v[22:23], v[22:23], v[32:33]
	v_add_f64 v[32:33], v[36:37], v[148:149]
	v_fmac_f64_e32 v[24:25], s[4:5], v[118:119]
	v_fmac_f64_e32 v[124:125], s[4:5], v[118:119]
	v_fma_f64 v[118:119], -0.5, v[32:33], v[126:127]
	v_add_f64 v[8:9], v[8:9], -v[28:29]
	v_fma_f64 v[32:33], s[10:11], v[8:9], v[118:119]
	v_add_f64 v[12:13], v[12:13], -v[166:167]
	v_fmac_f64_e32 v[118:119], s[2:3], v[8:9]
	v_fmac_f64_e32 v[32:33], s[12:13], v[12:13]
	;; [unrolled: 1-line block ×5, first 2 shown]
	v_add_f64 v[22:23], v[36:37], -v[18:19]
	v_add_f64 v[28:29], v[148:149], -v[144:145]
	v_add_f64 v[28:29], v[22:23], v[28:29]
	v_add_f64 v[22:23], v[18:19], v[144:145]
	v_fma_f64 v[122:123], -0.5, v[22:23], v[126:127]
	v_fma_f64 v[22:23], s[2:3], v[12:13], v[122:123]
	v_fmac_f64_e32 v[122:123], s[10:11], v[12:13]
	v_fmac_f64_e32 v[22:23], s[12:13], v[8:9]
	;; [unrolled: 1-line block ×3, first 2 shown]
	v_add_f64 v[8:9], v[126:127], v[36:37]
	v_lshl_add_u64 v[12:13], v[130:131], 4, s[8:9]
	v_add_f64 v[8:9], v[18:19], v[8:9]
	v_lshl_add_u64 v[18:19], v[12:13], 0, s[14:15]
	v_add_co_u32_e32 v12, vcc, s18, v12
	ds_read_b64 v[194:195], v198
	s_nop 0
	v_addc_co_u32_e32 v13, vcc, 0, v13, vcc
	global_load_dwordx4 v[154:157], v[18:19], off offset:32
	global_load_dwordx4 v[158:161], v[18:19], off offset:16
	;; [unrolled: 1-line block ×4, first 2 shown]
	ds_read2st64_b64 v[174:177], v227 offset1:7
	ds_read2_b64 v[190:193], v132 offset0:152 offset1:208
	v_fmac_f64_e32 v[22:23], s[4:5], v[28:29]
	v_fmac_f64_e32 v[122:123], s[4:5], v[28:29]
	v_add_f64 v[8:9], v[8:9], v[144:145]
	v_add_f64 v[126:127], v[8:9], v[148:149]
	s_waitcnt vmcnt(7) lgkmcnt(0)
	v_mul_f64 v[36:37], v[150:151], v[192:193]
	s_waitcnt vmcnt(6)
	v_mul_f64 v[12:13], v[178:179], v[142:143]
	s_waitcnt vmcnt(5)
	v_mul_f64 v[28:29], v[182:183], v[176:177]
	v_fmac_f64_e32 v[12:13], v[16:17], v[180:181]
	s_waitcnt vmcnt(4)
	v_mul_f64 v[166:167], v[162:163], v[146:147]
	v_fmac_f64_e32 v[28:29], v[2:3], v[184:185]
	v_fmac_f64_e32 v[36:37], v[6:7], v[152:153]
	;; [unrolled: 1-line block ×3, first 2 shown]
	v_add_f64 v[8:9], v[12:13], -v[28:29]
	v_add_f64 v[18:19], v[36:37], -v[166:167]
	v_add_f64 v[8:9], v[8:9], v[18:19]
	v_mul_f64 v[18:19], v[184:185], v[176:177]
	v_fma_f64 v[2:3], v[2:3], v[182:183], -v[18:19]
	v_mul_f64 v[18:19], v[164:165], v[146:147]
	v_fma_f64 v[20:21], v[20:21], v[162:163], -v[18:19]
	v_add_f64 v[18:19], v[28:29], v[166:167]
	v_fma_f64 v[132:133], -0.5, v[18:19], v[194:195]
	v_mul_f64 v[18:19], v[180:181], v[142:143]
	v_fma_f64 v[146:147], v[16:17], v[178:179], -v[18:19]
	v_mul_f64 v[16:17], v[152:153], v[192:193]
	v_fma_f64 v[150:151], v[6:7], v[150:151], -v[16:17]
	v_add_f64 v[6:7], v[146:147], -v[150:151]
	v_add_f64 v[130:131], v[2:3], -v[20:21]
	v_fma_f64 v[18:19], s[2:3], v[6:7], v[132:133]
	v_fmac_f64_e32 v[132:133], s[10:11], v[6:7]
	v_fmac_f64_e32 v[18:19], s[0:1], v[130:131]
	;; [unrolled: 1-line block ×5, first 2 shown]
	v_add_f64 v[8:9], v[28:29], -v[12:13]
	v_add_f64 v[16:17], v[166:167], -v[36:37]
	v_add_f64 v[16:17], v[8:9], v[16:17]
	v_add_f64 v[8:9], v[12:13], v[36:37]
	v_fma_f64 v[144:145], -0.5, v[8:9], v[194:195]
	v_fma_f64 v[8:9], s[10:11], v[130:131], v[144:145]
	v_fmac_f64_e32 v[144:145], s[2:3], v[130:131]
	v_fmac_f64_e32 v[8:9], s[0:1], v[6:7]
	v_fmac_f64_e32 v[144:145], s[12:13], v[6:7]
	v_add_f64 v[6:7], v[28:29], v[194:195]
	v_add_f64 v[6:7], v[12:13], v[6:7]
	;; [unrolled: 1-line block ×3, first 2 shown]
	v_fmac_f64_e32 v[8:9], s[4:5], v[16:17]
	v_fmac_f64_e32 v[144:145], s[4:5], v[16:17]
	v_add_f64 v[148:149], v[166:167], v[6:7]
	v_add_f64 v[6:7], v[146:147], -v[2:3]
	v_add_f64 v[16:17], v[150:151], -v[20:21]
	v_add_f64 v[6:7], v[6:7], v[16:17]
	v_add_f64 v[16:17], v[2:3], v[20:21]
	v_fma_f64 v[130:131], -0.5, v[16:17], v[138:139]
	v_add_f64 v[12:13], v[12:13], -v[36:37]
	v_fma_f64 v[16:17], s[10:11], v[12:13], v[130:131]
	v_add_f64 v[28:29], v[28:29], -v[166:167]
	v_fmac_f64_e32 v[130:131], s[2:3], v[12:13]
	v_fmac_f64_e32 v[16:17], s[12:13], v[28:29]
	v_fmac_f64_e32 v[130:131], s[0:1], v[28:29]
	v_fmac_f64_e32 v[16:17], s[4:5], v[6:7]
	v_fmac_f64_e32 v[130:131], s[4:5], v[6:7]
	v_add_f64 v[6:7], v[2:3], -v[146:147]
	v_add_f64 v[36:37], v[20:21], -v[150:151]
	v_add_f64 v[36:37], v[6:7], v[36:37]
	v_add_f64 v[6:7], v[146:147], v[150:151]
	v_fma_f64 v[142:143], -0.5, v[6:7], v[138:139]
	v_add_f64 v[2:3], v[138:139], v[2:3]
	v_fma_f64 v[6:7], s[2:3], v[28:29], v[142:143]
	v_fmac_f64_e32 v[142:143], s[10:11], v[28:29]
	v_add_f64 v[2:3], v[146:147], v[2:3]
	v_fmac_f64_e32 v[6:7], s[12:13], v[12:13]
	v_fmac_f64_e32 v[142:143], s[0:1], v[12:13]
	v_add_f64 v[2:3], v[2:3], v[150:151]
	v_fmac_f64_e32 v[6:7], s[4:5], v[36:37]
	v_fmac_f64_e32 v[142:143], s[4:5], v[36:37]
	v_add_f64 v[146:147], v[2:3], v[20:21]
	s_waitcnt vmcnt(2)
	v_mul_f64 v[2:3], v[158:159], v[26:27]
	s_waitcnt vmcnt(1)
	v_mul_f64 v[20:21], v[170:171], v[140:141]
	v_mul_f64 v[36:37], v[154:155], v[190:191]
	s_waitcnt vmcnt(0)
	v_mul_f64 v[138:139], v[186:187], v[30:31]
	v_fmac_f64_e32 v[2:3], v[10:11], v[160:161]
	v_fmac_f64_e32 v[20:21], v[134:135], v[172:173]
	;; [unrolled: 1-line block ×4, first 2 shown]
	v_add_f64 v[12:13], v[2:3], -v[20:21]
	v_add_f64 v[28:29], v[36:37], -v[138:139]
	v_add_f64 v[28:29], v[12:13], v[28:29]
	v_mul_f64 v[12:13], v[172:173], v[140:141]
	v_mul_f64 v[26:27], v[160:161], v[26:27]
	v_fma_f64 v[134:135], v[134:135], v[170:171], -v[12:13]
	v_mul_f64 v[12:13], v[188:189], v[30:31]
	v_fma_f64 v[150:151], v[10:11], v[158:159], -v[26:27]
	;; [unrolled: 2-line block ×3, first 2 shown]
	v_add_f64 v[12:13], v[20:21], v[138:139]
	v_fma_f64 v[154:155], v[4:5], v[154:155], -v[10:11]
	v_fma_f64 v[12:13], -0.5, v[12:13], v[174:175]
	v_add_f64 v[10:11], v[150:151], -v[154:155]
	v_add_f64 v[30:31], v[134:135], -v[14:15]
	v_fma_f64 v[4:5], s[2:3], v[10:11], v[12:13]
	v_fmac_f64_e32 v[12:13], s[10:11], v[10:11]
	v_fmac_f64_e32 v[4:5], s[0:1], v[30:31]
	;; [unrolled: 1-line block ×5, first 2 shown]
	v_add_f64 v[26:27], v[20:21], -v[2:3]
	v_add_f64 v[28:29], v[138:139], -v[36:37]
	v_add_f64 v[26:27], v[26:27], v[28:29]
	v_add_f64 v[28:29], v[2:3], v[36:37]
	v_fma_f64 v[28:29], -0.5, v[28:29], v[174:175]
	v_fma_f64 v[140:141], s[10:11], v[30:31], v[28:29]
	v_fmac_f64_e32 v[28:29], s[2:3], v[30:31]
	v_fmac_f64_e32 v[140:141], s[0:1], v[10:11]
	;; [unrolled: 1-line block ×3, first 2 shown]
	v_add_f64 v[10:11], v[20:21], v[174:175]
	v_add_f64 v[10:11], v[2:3], v[10:11]
	;; [unrolled: 1-line block ×3, first 2 shown]
	v_fmac_f64_e32 v[140:141], s[4:5], v[26:27]
	v_fmac_f64_e32 v[28:29], s[4:5], v[26:27]
	v_add_f64 v[152:153], v[138:139], v[10:11]
	v_add_f64 v[10:11], v[150:151], -v[134:135]
	v_add_f64 v[26:27], v[154:155], -v[14:15]
	v_add_f64 v[26:27], v[10:11], v[26:27]
	v_add_f64 v[10:11], v[134:135], v[14:15]
	v_fma_f64 v[10:11], -0.5, v[10:11], v[0:1]
	v_add_f64 v[30:31], v[2:3], -v[36:37]
	v_fma_f64 v[2:3], s[10:11], v[30:31], v[10:11]
	v_add_f64 v[20:21], v[20:21], -v[138:139]
	v_fmac_f64_e32 v[10:11], s[2:3], v[30:31]
	v_fmac_f64_e32 v[2:3], s[12:13], v[20:21]
	;; [unrolled: 1-line block ×5, first 2 shown]
	v_add_f64 v[26:27], v[134:135], -v[150:151]
	v_add_f64 v[36:37], v[14:15], -v[154:155]
	v_add_f64 v[36:37], v[26:27], v[36:37]
	v_add_f64 v[26:27], v[150:151], v[154:155]
	v_fma_f64 v[26:27], -0.5, v[26:27], v[0:1]
	v_add_f64 v[0:1], v[0:1], v[134:135]
	v_fma_f64 v[138:139], s[2:3], v[20:21], v[26:27]
	v_fmac_f64_e32 v[26:27], s[10:11], v[20:21]
	v_add_f64 v[0:1], v[150:151], v[0:1]
	v_fmac_f64_e32 v[26:27], s[0:1], v[30:31]
	v_add_f64 v[0:1], v[0:1], v[154:155]
	s_mov_b32 s0, 0x5397829d
	v_add_f64 v[150:151], v[0:1], v[14:15]
	v_mul_hi_u32 v0, v226, s0
	v_lshrrev_b32_e32 v0, 7, v0
	v_mul_u32_u24_e32 v0, 0x188, v0
	v_fmac_f64_e32 v[138:139], s[12:13], v[30:31]
	v_sub_u32_e32 v30, v226, v0
	v_mad_u64_u32 v[14:15], s[2:3], s16, v30, 0
	v_mov_b32_e32 v0, v15
	v_mad_u64_u32 v[0:1], s[2:3], s17, v30, v[0:1]
	v_mov_b32_e32 v15, v0
	v_lshl_add_u64 v[0:1], v[136:137], 4, s[6:7]
	v_lshl_add_u64 v[0:1], v[168:169], 4, v[0:1]
	;; [unrolled: 1-line block ×3, first 2 shown]
	v_add_u32_e32 v21, 0x188, v30
	global_store_dwordx4 v[14:15], v[150:153], off
	v_mad_u64_u32 v[14:15], s[2:3], s16, v21, 0
	v_mov_b32_e32 v20, v15
	v_mad_u64_u32 v[20:21], s[2:3], s17, v21, v[20:21]
	v_mov_b32_e32 v15, v20
	v_fmac_f64_e32 v[26:27], s[4:5], v[36:37]
	v_lshl_add_u64 v[14:15], v[14:15], 4, v[0:1]
	v_add_u32_e32 v21, 0x310, v30
	global_store_dwordx4 v[14:15], v[26:29], off
	v_mad_u64_u32 v[14:15], s[2:3], s16, v21, 0
	v_mov_b32_e32 v20, v15
	v_mad_u64_u32 v[20:21], s[2:3], s17, v21, v[20:21]
	v_mov_b32_e32 v15, v20
	v_lshl_add_u64 v[14:15], v[14:15], 4, v[0:1]
	global_store_dwordx4 v[14:15], v[10:13], off
	v_fmac_f64_e32 v[138:139], s[4:5], v[36:37]
	s_movk_i32 s1, 0x7a8
	v_add_u32_e32 v13, 0x498, v30
	v_mad_u64_u32 v[10:11], s[2:3], s16, v13, 0
	v_mov_b32_e32 v12, v11
	v_mad_u64_u32 v[12:13], s[2:3], s17, v13, v[12:13]
	v_mov_b32_e32 v11, v12
	v_lshl_add_u64 v[10:11], v[10:11], 4, v[0:1]
	global_store_dwordx4 v[10:11], v[2:5], off
	s_nop 1
	v_add_u32_e32 v5, 0x620, v30
	v_mad_u64_u32 v[2:3], s[2:3], s16, v5, 0
	v_mov_b32_e32 v4, v3
	v_mad_u64_u32 v[4:5], s[2:3], s17, v5, v[4:5]
	v_mov_b32_e32 v3, v4
	v_lshl_add_u64 v[2:3], v[2:3], 4, v[0:1]
	global_store_dwordx4 v[2:3], v[138:141], off
	v_add_u32_e32 v2, 56, v226
	v_mul_hi_u32 v3, v2, s0
	v_lshrrev_b32_e32 v3, 7, v3
	v_mul_u32_u24_e32 v4, 0x188, v3
	v_sub_u32_e32 v2, v2, v4
	v_mad_u32_u24 v10, v3, s1, v2
	v_mad_u64_u32 v[2:3], s[2:3], s16, v10, 0
	v_mov_b32_e32 v4, v3
	v_mad_u64_u32 v[4:5], s[2:3], s17, v10, v[4:5]
	v_mov_b32_e32 v3, v4
	v_lshl_add_u64 v[2:3], v[2:3], 4, v[0:1]
	v_add_u32_e32 v5, 0x188, v10
	global_store_dwordx4 v[2:3], v[146:149], off
	v_mad_u64_u32 v[2:3], s[2:3], s16, v5, 0
	v_mov_b32_e32 v4, v3
	v_mad_u64_u32 v[4:5], s[2:3], s17, v5, v[4:5]
	v_mov_b32_e32 v3, v4
	v_lshl_add_u64 v[2:3], v[2:3], 4, v[0:1]
	v_add_u32_e32 v5, 0x310, v10
	global_store_dwordx4 v[2:3], v[142:145], off
	v_mad_u64_u32 v[2:3], s[2:3], s16, v5, 0
	v_mov_b32_e32 v4, v3
	v_mad_u64_u32 v[4:5], s[2:3], s17, v5, v[4:5]
	v_mov_b32_e32 v3, v4
	v_lshl_add_u64 v[2:3], v[2:3], 4, v[0:1]
	v_add_u32_e32 v5, 0x498, v10
	global_store_dwordx4 v[2:3], v[130:133], off
	v_mad_u64_u32 v[2:3], s[2:3], s16, v5, 0
	v_mov_b32_e32 v4, v3
	v_mad_u64_u32 v[4:5], s[2:3], s17, v5, v[4:5]
	v_mov_b32_e32 v3, v4
	v_lshl_add_u64 v[2:3], v[2:3], 4, v[0:1]
	v_add_u32_e32 v5, 0x620, v10
	global_store_dwordx4 v[2:3], v[16:19], off
	v_mad_u64_u32 v[2:3], s[2:3], s16, v5, 0
	v_mov_b32_e32 v4, v3
	v_mad_u64_u32 v[4:5], s[2:3], s17, v5, v[4:5]
	v_mov_b32_e32 v3, v4
	v_lshl_add_u64 v[2:3], v[2:3], 4, v[0:1]
	global_store_dwordx4 v[2:3], v[6:9], off
	v_add_u32_e32 v2, 0x70, v226
	v_mul_hi_u32 v3, v2, s0
	v_lshrrev_b32_e32 v3, 7, v3
	v_mul_u32_u24_e32 v4, 0x188, v3
	v_sub_u32_e32 v2, v2, v4
	v_mad_u32_u24 v6, v3, s1, v2
	v_mad_u64_u32 v[2:3], s[2:3], s16, v6, 0
	v_mov_b32_e32 v4, v3
	v_mad_u64_u32 v[4:5], s[2:3], s17, v6, v[4:5]
	v_mov_b32_e32 v3, v4
	v_lshl_add_u64 v[2:3], v[2:3], 4, v[0:1]
	v_add_u32_e32 v5, 0x188, v6
	global_store_dwordx4 v[2:3], v[126:129], off
	v_mad_u64_u32 v[2:3], s[2:3], s16, v5, 0
	v_mov_b32_e32 v4, v3
	v_mad_u64_u32 v[4:5], s[2:3], s17, v5, v[4:5]
	v_mov_b32_e32 v3, v4
	v_lshl_add_u64 v[2:3], v[2:3], 4, v[0:1]
	v_add_u32_e32 v5, 0x310, v6
	global_store_dwordx4 v[2:3], v[122:125], off
	v_mad_u64_u32 v[2:3], s[2:3], s16, v5, 0
	v_mov_b32_e32 v4, v3
	v_mad_u64_u32 v[4:5], s[2:3], s17, v5, v[4:5]
	v_mov_b32_e32 v3, v4
	v_lshl_add_u64 v[2:3], v[2:3], 4, v[0:1]
	v_add_u32_e32 v5, 0x498, v6
	global_store_dwordx4 v[2:3], v[118:121], off
	v_mad_u64_u32 v[2:3], s[2:3], s16, v5, 0
	v_mov_b32_e32 v4, v3
	v_mad_u64_u32 v[4:5], s[2:3], s17, v5, v[4:5]
	v_mov_b32_e32 v3, v4
	v_lshl_add_u64 v[2:3], v[2:3], 4, v[0:1]
	v_add_u32_e32 v5, 0x620, v6
	global_store_dwordx4 v[2:3], v[32:35], off
	;; [unrolled: 40-line block ×6, first 2 shown]
	v_mad_u64_u32 v[2:3], s[0:1], s16, v5, 0
	v_mov_b32_e32 v4, v3
	v_mad_u64_u32 v[4:5], s[0:1], s17, v5, v[4:5]
	v_mov_b32_e32 v3, v4
	v_lshl_add_u64 v[0:1], v[2:3], 4, v[0:1]
	global_store_dwordx4 v[0:1], v[62:65], off
.LBB0_29:
	s_endpgm
	.section	.rodata,"a",@progbits
	.p2align	6, 0x0
	.amdhsa_kernel fft_rtc_fwd_len1960_factors_4_7_2_7_5_wgs_56_tpt_56_halfLds_dp_op_CI_CI_sbrr_dirReg
		.amdhsa_group_segment_fixed_size 0
		.amdhsa_private_segment_fixed_size 0
		.amdhsa_kernarg_size 104
		.amdhsa_user_sgpr_count 2
		.amdhsa_user_sgpr_dispatch_ptr 0
		.amdhsa_user_sgpr_queue_ptr 0
		.amdhsa_user_sgpr_kernarg_segment_ptr 1
		.amdhsa_user_sgpr_dispatch_id 0
		.amdhsa_user_sgpr_kernarg_preload_length 0
		.amdhsa_user_sgpr_kernarg_preload_offset 0
		.amdhsa_user_sgpr_private_segment_size 0
		.amdhsa_uses_dynamic_stack 0
		.amdhsa_enable_private_segment 0
		.amdhsa_system_sgpr_workgroup_id_x 1
		.amdhsa_system_sgpr_workgroup_id_y 0
		.amdhsa_system_sgpr_workgroup_id_z 0
		.amdhsa_system_sgpr_workgroup_info 0
		.amdhsa_system_vgpr_workitem_id 0
		.amdhsa_next_free_vgpr 304
		.amdhsa_next_free_sgpr 32
		.amdhsa_accum_offset 256
		.amdhsa_reserve_vcc 1
		.amdhsa_float_round_mode_32 0
		.amdhsa_float_round_mode_16_64 0
		.amdhsa_float_denorm_mode_32 3
		.amdhsa_float_denorm_mode_16_64 3
		.amdhsa_dx10_clamp 1
		.amdhsa_ieee_mode 1
		.amdhsa_fp16_overflow 0
		.amdhsa_tg_split 0
		.amdhsa_exception_fp_ieee_invalid_op 0
		.amdhsa_exception_fp_denorm_src 0
		.amdhsa_exception_fp_ieee_div_zero 0
		.amdhsa_exception_fp_ieee_overflow 0
		.amdhsa_exception_fp_ieee_underflow 0
		.amdhsa_exception_fp_ieee_inexact 0
		.amdhsa_exception_int_div_zero 0
	.end_amdhsa_kernel
	.text
.Lfunc_end0:
	.size	fft_rtc_fwd_len1960_factors_4_7_2_7_5_wgs_56_tpt_56_halfLds_dp_op_CI_CI_sbrr_dirReg, .Lfunc_end0-fft_rtc_fwd_len1960_factors_4_7_2_7_5_wgs_56_tpt_56_halfLds_dp_op_CI_CI_sbrr_dirReg
                                        ; -- End function
	.section	.AMDGPU.csdata,"",@progbits
; Kernel info:
; codeLenInByte = 25540
; NumSgprs: 38
; NumVgprs: 256
; NumAgprs: 48
; TotalNumVgprs: 304
; ScratchSize: 0
; MemoryBound: 1
; FloatMode: 240
; IeeeMode: 1
; LDSByteSize: 0 bytes/workgroup (compile time only)
; SGPRBlocks: 4
; VGPRBlocks: 37
; NumSGPRsForWavesPerEU: 38
; NumVGPRsForWavesPerEU: 304
; AccumOffset: 256
; Occupancy: 1
; WaveLimiterHint : 1
; COMPUTE_PGM_RSRC2:SCRATCH_EN: 0
; COMPUTE_PGM_RSRC2:USER_SGPR: 2
; COMPUTE_PGM_RSRC2:TRAP_HANDLER: 0
; COMPUTE_PGM_RSRC2:TGID_X_EN: 1
; COMPUTE_PGM_RSRC2:TGID_Y_EN: 0
; COMPUTE_PGM_RSRC2:TGID_Z_EN: 0
; COMPUTE_PGM_RSRC2:TIDIG_COMP_CNT: 0
; COMPUTE_PGM_RSRC3_GFX90A:ACCUM_OFFSET: 63
; COMPUTE_PGM_RSRC3_GFX90A:TG_SPLIT: 0
	.text
	.p2alignl 6, 3212836864
	.fill 256, 4, 3212836864
	.type	__hip_cuid_b2f4a49025588be6,@object ; @__hip_cuid_b2f4a49025588be6
	.section	.bss,"aw",@nobits
	.globl	__hip_cuid_b2f4a49025588be6
__hip_cuid_b2f4a49025588be6:
	.byte	0                               ; 0x0
	.size	__hip_cuid_b2f4a49025588be6, 1

	.ident	"AMD clang version 19.0.0git (https://github.com/RadeonOpenCompute/llvm-project roc-6.4.0 25133 c7fe45cf4b819c5991fe208aaa96edf142730f1d)"
	.section	".note.GNU-stack","",@progbits
	.addrsig
	.addrsig_sym __hip_cuid_b2f4a49025588be6
	.amdgpu_metadata
---
amdhsa.kernels:
  - .agpr_count:     48
    .args:
      - .actual_access:  read_only
        .address_space:  global
        .offset:         0
        .size:           8
        .value_kind:     global_buffer
      - .offset:         8
        .size:           8
        .value_kind:     by_value
      - .actual_access:  read_only
        .address_space:  global
        .offset:         16
        .size:           8
        .value_kind:     global_buffer
      - .actual_access:  read_only
        .address_space:  global
        .offset:         24
        .size:           8
        .value_kind:     global_buffer
      - .actual_access:  read_only
        .address_space:  global
        .offset:         32
        .size:           8
        .value_kind:     global_buffer
      - .offset:         40
        .size:           8
        .value_kind:     by_value
      - .actual_access:  read_only
        .address_space:  global
        .offset:         48
        .size:           8
        .value_kind:     global_buffer
      - .actual_access:  read_only
        .address_space:  global
        .offset:         56
        .size:           8
        .value_kind:     global_buffer
      - .offset:         64
        .size:           4
        .value_kind:     by_value
      - .actual_access:  read_only
        .address_space:  global
        .offset:         72
        .size:           8
        .value_kind:     global_buffer
      - .actual_access:  read_only
        .address_space:  global
        .offset:         80
        .size:           8
        .value_kind:     global_buffer
      - .actual_access:  read_only
        .address_space:  global
        .offset:         88
        .size:           8
        .value_kind:     global_buffer
      - .actual_access:  write_only
        .address_space:  global
        .offset:         96
        .size:           8
        .value_kind:     global_buffer
    .group_segment_fixed_size: 0
    .kernarg_segment_align: 8
    .kernarg_segment_size: 104
    .language:       OpenCL C
    .language_version:
      - 2
      - 0
    .max_flat_workgroup_size: 56
    .name:           fft_rtc_fwd_len1960_factors_4_7_2_7_5_wgs_56_tpt_56_halfLds_dp_op_CI_CI_sbrr_dirReg
    .private_segment_fixed_size: 0
    .sgpr_count:     38
    .sgpr_spill_count: 0
    .symbol:         fft_rtc_fwd_len1960_factors_4_7_2_7_5_wgs_56_tpt_56_halfLds_dp_op_CI_CI_sbrr_dirReg.kd
    .uniform_work_group_size: 1
    .uses_dynamic_stack: false
    .vgpr_count:     304
    .vgpr_spill_count: 0
    .wavefront_size: 64
amdhsa.target:   amdgcn-amd-amdhsa--gfx950
amdhsa.version:
  - 1
  - 2
...

	.end_amdgpu_metadata
